;; amdgpu-corpus repo=ROCm/rocFFT kind=compiled arch=gfx1030 opt=O3
	.text
	.amdgcn_target "amdgcn-amd-amdhsa--gfx1030"
	.amdhsa_code_object_version 6
	.protected	fft_rtc_back_len3750_factors_3_5_5_10_5_wgs_125_tpt_125_halfLds_half_ip_CI_unitstride_sbrr_dirReg ; -- Begin function fft_rtc_back_len3750_factors_3_5_5_10_5_wgs_125_tpt_125_halfLds_half_ip_CI_unitstride_sbrr_dirReg
	.globl	fft_rtc_back_len3750_factors_3_5_5_10_5_wgs_125_tpt_125_halfLds_half_ip_CI_unitstride_sbrr_dirReg
	.p2align	8
	.type	fft_rtc_back_len3750_factors_3_5_5_10_5_wgs_125_tpt_125_halfLds_half_ip_CI_unitstride_sbrr_dirReg,@function
fft_rtc_back_len3750_factors_3_5_5_10_5_wgs_125_tpt_125_halfLds_half_ip_CI_unitstride_sbrr_dirReg: ; @fft_rtc_back_len3750_factors_3_5_5_10_5_wgs_125_tpt_125_halfLds_half_ip_CI_unitstride_sbrr_dirReg
; %bb.0:
	s_clause 0x2
	s_load_dwordx4 s[8:11], s[4:5], 0x0
	s_load_dwordx2 s[2:3], s[4:5], 0x50
	s_load_dwordx2 s[12:13], s[4:5], 0x18
	v_mul_u32_u24_e32 v1, 0x20d, v0
	v_mov_b32_e32 v3, 0
	v_add_nc_u32_sdwa v5, s6, v1 dst_sel:DWORD dst_unused:UNUSED_PAD src0_sel:DWORD src1_sel:WORD_1
	v_mov_b32_e32 v1, 0
	v_mov_b32_e32 v6, v3
	v_mov_b32_e32 v2, 0
	s_waitcnt lgkmcnt(0)
	v_cmp_lt_u64_e64 s0, s[10:11], 2
	s_and_b32 vcc_lo, exec_lo, s0
	s_cbranch_vccnz .LBB0_8
; %bb.1:
	s_load_dwordx2 s[0:1], s[4:5], 0x10
	v_mov_b32_e32 v1, 0
	s_add_u32 s6, s12, 8
	v_mov_b32_e32 v2, 0
	s_addc_u32 s7, s13, 0
	s_mov_b64 s[16:17], 1
	s_waitcnt lgkmcnt(0)
	s_add_u32 s14, s0, 8
	s_addc_u32 s15, s1, 0
.LBB0_2:                                ; =>This Inner Loop Header: Depth=1
	s_load_dwordx2 s[18:19], s[14:15], 0x0
                                        ; implicit-def: $vgpr7_vgpr8
	s_mov_b32 s0, exec_lo
	s_waitcnt lgkmcnt(0)
	v_or_b32_e32 v4, s19, v6
	v_cmpx_ne_u64_e32 0, v[3:4]
	s_xor_b32 s1, exec_lo, s0
	s_cbranch_execz .LBB0_4
; %bb.3:                                ;   in Loop: Header=BB0_2 Depth=1
	v_cvt_f32_u32_e32 v4, s18
	v_cvt_f32_u32_e32 v7, s19
	s_sub_u32 s0, 0, s18
	s_subb_u32 s20, 0, s19
	v_fmac_f32_e32 v4, 0x4f800000, v7
	v_rcp_f32_e32 v4, v4
	v_mul_f32_e32 v4, 0x5f7ffffc, v4
	v_mul_f32_e32 v7, 0x2f800000, v4
	v_trunc_f32_e32 v7, v7
	v_fmac_f32_e32 v4, 0xcf800000, v7
	v_cvt_u32_f32_e32 v7, v7
	v_cvt_u32_f32_e32 v4, v4
	v_mul_lo_u32 v8, s0, v7
	v_mul_hi_u32 v9, s0, v4
	v_mul_lo_u32 v10, s20, v4
	v_add_nc_u32_e32 v8, v9, v8
	v_mul_lo_u32 v9, s0, v4
	v_add_nc_u32_e32 v8, v8, v10
	v_mul_hi_u32 v10, v4, v9
	v_mul_lo_u32 v11, v4, v8
	v_mul_hi_u32 v12, v4, v8
	v_mul_hi_u32 v13, v7, v9
	v_mul_lo_u32 v9, v7, v9
	v_mul_hi_u32 v14, v7, v8
	v_mul_lo_u32 v8, v7, v8
	v_add_co_u32 v10, vcc_lo, v10, v11
	v_add_co_ci_u32_e32 v11, vcc_lo, 0, v12, vcc_lo
	v_add_co_u32 v9, vcc_lo, v10, v9
	v_add_co_ci_u32_e32 v9, vcc_lo, v11, v13, vcc_lo
	v_add_co_ci_u32_e32 v10, vcc_lo, 0, v14, vcc_lo
	v_add_co_u32 v8, vcc_lo, v9, v8
	v_add_co_ci_u32_e32 v9, vcc_lo, 0, v10, vcc_lo
	v_add_co_u32 v4, vcc_lo, v4, v8
	v_add_co_ci_u32_e32 v7, vcc_lo, v7, v9, vcc_lo
	v_mul_hi_u32 v8, s0, v4
	v_mul_lo_u32 v10, s20, v4
	v_mul_lo_u32 v9, s0, v7
	v_add_nc_u32_e32 v8, v8, v9
	v_mul_lo_u32 v9, s0, v4
	v_add_nc_u32_e32 v8, v8, v10
	v_mul_hi_u32 v10, v4, v9
	v_mul_lo_u32 v11, v4, v8
	v_mul_hi_u32 v12, v4, v8
	v_mul_hi_u32 v13, v7, v9
	v_mul_lo_u32 v9, v7, v9
	v_mul_hi_u32 v14, v7, v8
	v_mul_lo_u32 v8, v7, v8
	v_add_co_u32 v10, vcc_lo, v10, v11
	v_add_co_ci_u32_e32 v11, vcc_lo, 0, v12, vcc_lo
	v_add_co_u32 v9, vcc_lo, v10, v9
	v_add_co_ci_u32_e32 v9, vcc_lo, v11, v13, vcc_lo
	v_add_co_ci_u32_e32 v10, vcc_lo, 0, v14, vcc_lo
	v_add_co_u32 v8, vcc_lo, v9, v8
	v_add_co_ci_u32_e32 v9, vcc_lo, 0, v10, vcc_lo
	v_add_co_u32 v4, vcc_lo, v4, v8
	v_add_co_ci_u32_e32 v11, vcc_lo, v7, v9, vcc_lo
	v_mul_hi_u32 v13, v5, v4
	v_mad_u64_u32 v[9:10], null, v6, v4, 0
	v_mad_u64_u32 v[7:8], null, v5, v11, 0
	;; [unrolled: 1-line block ×3, first 2 shown]
	v_add_co_u32 v4, vcc_lo, v13, v7
	v_add_co_ci_u32_e32 v7, vcc_lo, 0, v8, vcc_lo
	v_add_co_u32 v4, vcc_lo, v4, v9
	v_add_co_ci_u32_e32 v4, vcc_lo, v7, v10, vcc_lo
	v_add_co_ci_u32_e32 v7, vcc_lo, 0, v12, vcc_lo
	v_add_co_u32 v4, vcc_lo, v4, v11
	v_add_co_ci_u32_e32 v9, vcc_lo, 0, v7, vcc_lo
	v_mul_lo_u32 v10, s19, v4
	v_mad_u64_u32 v[7:8], null, s18, v4, 0
	v_mul_lo_u32 v11, s18, v9
	v_sub_co_u32 v7, vcc_lo, v5, v7
	v_add3_u32 v8, v8, v11, v10
	v_sub_nc_u32_e32 v10, v6, v8
	v_subrev_co_ci_u32_e64 v10, s0, s19, v10, vcc_lo
	v_add_co_u32 v11, s0, v4, 2
	v_add_co_ci_u32_e64 v12, s0, 0, v9, s0
	v_sub_co_u32 v13, s0, v7, s18
	v_sub_co_ci_u32_e32 v8, vcc_lo, v6, v8, vcc_lo
	v_subrev_co_ci_u32_e64 v10, s0, 0, v10, s0
	v_cmp_le_u32_e32 vcc_lo, s18, v13
	v_cmp_eq_u32_e64 s0, s19, v8
	v_cndmask_b32_e64 v13, 0, -1, vcc_lo
	v_cmp_le_u32_e32 vcc_lo, s19, v10
	v_cndmask_b32_e64 v14, 0, -1, vcc_lo
	v_cmp_le_u32_e32 vcc_lo, s18, v7
	;; [unrolled: 2-line block ×3, first 2 shown]
	v_cndmask_b32_e64 v15, 0, -1, vcc_lo
	v_cmp_eq_u32_e32 vcc_lo, s19, v10
	v_cndmask_b32_e64 v7, v15, v7, s0
	v_cndmask_b32_e32 v10, v14, v13, vcc_lo
	v_add_co_u32 v13, vcc_lo, v4, 1
	v_add_co_ci_u32_e32 v14, vcc_lo, 0, v9, vcc_lo
	v_cmp_ne_u32_e32 vcc_lo, 0, v10
	v_cndmask_b32_e32 v8, v14, v12, vcc_lo
	v_cndmask_b32_e32 v10, v13, v11, vcc_lo
	v_cmp_ne_u32_e32 vcc_lo, 0, v7
	v_cndmask_b32_e32 v8, v9, v8, vcc_lo
	v_cndmask_b32_e32 v7, v4, v10, vcc_lo
.LBB0_4:                                ;   in Loop: Header=BB0_2 Depth=1
	s_andn2_saveexec_b32 s0, s1
	s_cbranch_execz .LBB0_6
; %bb.5:                                ;   in Loop: Header=BB0_2 Depth=1
	v_cvt_f32_u32_e32 v4, s18
	s_sub_i32 s1, 0, s18
	v_rcp_iflag_f32_e32 v4, v4
	v_mul_f32_e32 v4, 0x4f7ffffe, v4
	v_cvt_u32_f32_e32 v4, v4
	v_mul_lo_u32 v7, s1, v4
	v_mul_hi_u32 v7, v4, v7
	v_add_nc_u32_e32 v4, v4, v7
	v_mul_hi_u32 v4, v5, v4
	v_mul_lo_u32 v7, v4, s18
	v_add_nc_u32_e32 v8, 1, v4
	v_sub_nc_u32_e32 v7, v5, v7
	v_subrev_nc_u32_e32 v9, s18, v7
	v_cmp_le_u32_e32 vcc_lo, s18, v7
	v_cndmask_b32_e32 v7, v7, v9, vcc_lo
	v_cndmask_b32_e32 v4, v4, v8, vcc_lo
	v_cmp_le_u32_e32 vcc_lo, s18, v7
	v_add_nc_u32_e32 v8, 1, v4
	v_cndmask_b32_e32 v7, v4, v8, vcc_lo
	v_mov_b32_e32 v8, v3
.LBB0_6:                                ;   in Loop: Header=BB0_2 Depth=1
	s_or_b32 exec_lo, exec_lo, s0
	s_load_dwordx2 s[0:1], s[6:7], 0x0
	v_mul_lo_u32 v4, v8, s18
	v_mul_lo_u32 v11, v7, s19
	v_mad_u64_u32 v[9:10], null, v7, s18, 0
	s_add_u32 s16, s16, 1
	s_addc_u32 s17, s17, 0
	s_add_u32 s6, s6, 8
	s_addc_u32 s7, s7, 0
	;; [unrolled: 2-line block ×3, first 2 shown]
	v_add3_u32 v4, v10, v11, v4
	v_sub_co_u32 v5, vcc_lo, v5, v9
	v_sub_co_ci_u32_e32 v4, vcc_lo, v6, v4, vcc_lo
	s_waitcnt lgkmcnt(0)
	v_mul_lo_u32 v6, s1, v5
	v_mul_lo_u32 v4, s0, v4
	v_mad_u64_u32 v[1:2], null, s0, v5, v[1:2]
	v_cmp_ge_u64_e64 s0, s[16:17], s[10:11]
	s_and_b32 vcc_lo, exec_lo, s0
	v_add3_u32 v2, v6, v2, v4
	s_cbranch_vccnz .LBB0_9
; %bb.7:                                ;   in Loop: Header=BB0_2 Depth=1
	v_mov_b32_e32 v5, v7
	v_mov_b32_e32 v6, v8
	s_branch .LBB0_2
.LBB0_8:
	v_mov_b32_e32 v8, v6
	v_mov_b32_e32 v7, v5
.LBB0_9:
	s_lshl_b64 s[0:1], s[10:11], 3
	v_mul_hi_u32 v5, 0x20c49bb, v0
	s_add_u32 s0, s12, s0
	s_addc_u32 s1, s13, s1
                                        ; implicit-def: $vgpr22
                                        ; implicit-def: $vgpr20
                                        ; implicit-def: $vgpr27
                                        ; implicit-def: $vgpr21
                                        ; implicit-def: $vgpr18
                                        ; implicit-def: $vgpr29
                                        ; implicit-def: $vgpr23
                                        ; implicit-def: $vgpr30
                                        ; implicit-def: $vgpr28
                                        ; implicit-def: $vgpr19
                                        ; implicit-def: $vgpr35
                                        ; implicit-def: $vgpr31
                                        ; implicit-def: $vgpr36
                                        ; implicit-def: $vgpr32
                                        ; implicit-def: $vgpr10
                                        ; implicit-def: $vgpr41
                                        ; implicit-def: $vgpr37
                                        ; implicit-def: $vgpr42
                                        ; implicit-def: $vgpr33
                                        ; implicit-def: $vgpr13
                                        ; implicit-def: $vgpr47
                                        ; implicit-def: $vgpr38
                                        ; implicit-def: $vgpr49
                                        ; implicit-def: $vgpr34
                                        ; implicit-def: $vgpr17
                                        ; implicit-def: $vgpr52
                                        ; implicit-def: $vgpr44
                                        ; implicit-def: $vgpr53
                                        ; implicit-def: $vgpr39
                                        ; implicit-def: $vgpr55
                                        ; implicit-def: $vgpr40
                                        ; implicit-def: $vgpr56
                                        ; implicit-def: $vgpr45
                                        ; implicit-def: $vgpr6
                                        ; implicit-def: $vgpr57
                                        ; implicit-def: $vgpr46
                                        ; implicit-def: $vgpr58
                                        ; implicit-def: $vgpr43
                                        ; implicit-def: $vgpr11
                                        ; implicit-def: $vgpr9
                                        ; implicit-def: $vgpr59
                                        ; implicit-def: $vgpr50
                                        ; implicit-def: $vgpr60
                                        ; implicit-def: $vgpr48
                                        ; implicit-def: $vgpr14
                                        ; implicit-def: $vgpr12
                                        ; implicit-def: $vgpr61
                                        ; implicit-def: $vgpr54
                                        ; implicit-def: $vgpr62
                                        ; implicit-def: $vgpr51
                                        ; implicit-def: $vgpr16
                                        ; implicit-def: $vgpr15
	s_load_dwordx2 s[0:1], s[0:1], 0x0
	s_load_dwordx2 s[4:5], s[4:5], 0x20
	s_waitcnt lgkmcnt(0)
	v_mul_lo_u32 v3, s0, v8
	v_mul_lo_u32 v4, s1, v7
	v_mad_u64_u32 v[1:2], null, s0, v7, v[1:2]
	v_cmp_gt_u64_e32 vcc_lo, s[4:5], v[7:8]
                                        ; implicit-def: $vgpr7
                                        ; implicit-def: $vgpr8
	v_add3_u32 v2, v4, v2, v3
	v_mul_u32_u24_e32 v3, 0x7d, v5
                                        ; implicit-def: $vgpr5
                                        ; implicit-def: $vgpr4
	v_lshlrev_b64 v[24:25], 2, v[1:2]
	v_sub_nc_u32_e32 v26, v0, v3
                                        ; implicit-def: $vgpr0
                                        ; implicit-def: $vgpr1
                                        ; implicit-def: $vgpr2
                                        ; implicit-def: $vgpr3
	s_and_saveexec_b32 s1, vcc_lo
	s_cbranch_execz .LBB0_11
; %bb.10:
	v_mov_b32_e32 v27, 0
	v_add_co_u32 v2, s0, s2, v24
	v_add_co_ci_u32_e64 v3, s0, s3, v25, s0
	v_lshlrev_b64 v[0:1], 2, v[26:27]
	v_add_co_u32 v0, s0, v2, v0
	v_add_co_ci_u32_e64 v1, s0, v3, v1, s0
	v_add_co_u32 v2, s0, 0x1000, v0
	v_add_co_ci_u32_e64 v3, s0, 0, v1, s0
	;; [unrolled: 2-line block ×7, first 2 shown]
	s_clause 0xb
	global_load_dword v51, v[2:3], off offset:904
	global_load_dword v48, v[2:3], off offset:1404
	;; [unrolled: 1-line block ×7, first 2 shown]
	global_load_dword v15, v[0:1], off
	global_load_dword v12, v[0:1], off offset:500
	global_load_dword v9, v[0:1], off offset:1000
	;; [unrolled: 1-line block ×4, first 2 shown]
	v_add_co_u32 v0, s0, 0x3800, v0
	v_add_co_ci_u32_e64 v1, s0, 0, v1, s0
	s_clause 0x11
	global_load_dword v45, v[20:21], off offset:356
	global_load_dword v39, v[20:21], off offset:856
	;; [unrolled: 1-line block ×18, first 2 shown]
	s_waitcnt vmcnt(26)
	v_lshrrev_b32_e32 v61, 16, v54
	s_waitcnt vmcnt(25)
	v_lshrrev_b32_e32 v59, 16, v50
	;; [unrolled: 2-line block ×9, first 2 shown]
	v_lshrrev_b32_e32 v62, 16, v51
	v_lshrrev_b32_e32 v60, 16, v48
	v_lshrrev_b32_e32 v58, 16, v43
	s_waitcnt vmcnt(17)
	v_lshrrev_b32_e32 v56, 16, v45
	s_waitcnt vmcnt(16)
	v_lshrrev_b32_e32 v53, 16, v39
	;; [unrolled: 2-line block ×3, first 2 shown]
	v_lshrrev_b32_e32 v5, 16, v17
	v_lshrrev_b32_e32 v49, 16, v34
	s_waitcnt vmcnt(9)
	v_lshrrev_b32_e32 v47, 16, v38
	v_lshrrev_b32_e32 v3, 16, v13
	v_lshrrev_b32_e32 v42, 16, v33
	s_waitcnt vmcnt(7)
	v_lshrrev_b32_e32 v41, 16, v37
	;; [unrolled: 4-line block ×3, first 2 shown]
	s_waitcnt vmcnt(3)
	v_lshrrev_b32_e32 v1, 16, v19
	s_waitcnt vmcnt(2)
	v_lshrrev_b32_e32 v30, 16, v28
	v_lshrrev_b32_e32 v29, 16, v23
	s_waitcnt vmcnt(1)
	v_lshrrev_b32_e32 v0, 16, v18
	s_waitcnt vmcnt(0)
	v_lshrrev_b32_e32 v27, 16, v21
	v_lshrrev_b32_e32 v22, 16, v20
.LBB0_11:
	s_or_b32 exec_lo, exec_lo, s1
	v_add_f16_e32 v65, v61, v62
	v_sub_f16_e32 v66, v62, v61
	v_add_f16_e32 v62, v62, v16
	v_add_f16_e32 v63, v54, v51
	;; [unrolled: 1-line block ×3, first 2 shown]
	v_sub_f16_e32 v51, v51, v54
	v_fmac_f16_e32 v16, -0.5, v65
	v_add_f16_e32 v67, v61, v62
	v_add_f16_e32 v61, v50, v48
	;; [unrolled: 1-line block ×3, first 2 shown]
	v_sub_f16_e32 v48, v48, v50
	v_fmamk_f16 v73, v51, 0x3aee, v16
	v_fmac_f16_e32 v16, 0xbaee, v51
	v_add_f16_e32 v51, v59, v60
	v_fmac_f16_e32 v12, -0.5, v61
	v_sub_f16_e32 v61, v60, v59
	v_add_f16_e32 v60, v60, v14
	v_fmac_f16_e32 v15, -0.5, v63
	v_fmac_f16_e32 v14, -0.5, v51
	v_add_f16_e32 v54, v54, v64
	v_mad_u32_u24 v87, v26, 6, 0
	v_add_f16_e32 v74, v59, v60
	v_add_f16_e32 v59, v46, v43
	v_fmamk_f16 v75, v48, 0x3aee, v14
	v_fmac_f16_e32 v14, 0xbaee, v48
	v_add_f16_e32 v48, v57, v58
	v_add_f16_e32 v60, v43, v9
	v_fmac_f16_e32 v9, -0.5, v59
	v_sub_f16_e32 v59, v58, v57
	v_add_f16_e32 v58, v58, v11
	v_fmac_f16_e32 v11, -0.5, v48
	v_sub_f16_e32 v43, v43, v46
	v_fmamk_f16 v63, v66, 0xbaee, v15
	v_fmac_f16_e32 v15, 0x3aee, v66
	v_add_f16_e32 v76, v57, v58
	v_add_f16_e32 v57, v40, v45
	v_fmamk_f16 v77, v43, 0x3aee, v11
	v_fmac_f16_e32 v11, 0xbaee, v43
	v_add_f16_e32 v43, v55, v56
	v_add_f16_e32 v58, v45, v8
	v_fmac_f16_e32 v8, -0.5, v57
	v_sub_f16_e32 v57, v56, v55
	v_add_f16_e32 v56, v56, v6
	v_fmac_f16_e32 v6, -0.5, v43
	v_add_f16_e32 v43, v40, v58
	v_sub_f16_e32 v40, v45, v40
	v_add_f16_e32 v51, v50, v62
	v_add_f16_e32 v78, v55, v56
	;; [unrolled: 1-line block ×4, first 2 shown]
	v_fmamk_f16 v79, v40, 0x3aee, v6
	v_fmac_f16_e32 v6, 0xbaee, v40
	v_add_f16_e32 v40, v52, v53
	v_fmac_f16_e32 v7, -0.5, v55
	v_sub_f16_e32 v55, v53, v52
	v_add_f16_e32 v53, v53, v4
	v_sub_f16_e32 v39, v39, v44
	v_fmac_f16_e32 v4, -0.5, v40
	v_add_f16_e32 v40, v44, v56
	v_fmamk_f16 v44, v55, 0xbaee, v7
	v_add_f16_e32 v52, v52, v53
	v_add_f16_e32 v53, v38, v34
	v_fmac_f16_e32 v7, 0x3aee, v55
	v_fmamk_f16 v80, v39, 0x3aee, v4
	v_fmac_f16_e32 v4, 0xbaee, v39
	v_add_f16_e32 v39, v47, v49
	v_add_f16_e32 v55, v34, v17
	v_fmac_f16_e32 v17, -0.5, v53
	v_sub_f16_e32 v53, v49, v47
	v_add_f16_e32 v49, v49, v5
	v_fmac_f16_e32 v5, -0.5, v39
	v_sub_f16_e32 v34, v34, v38
	v_fmamk_f16 v50, v61, 0xbaee, v12
	v_fmac_f16_e32 v12, 0x3aee, v61
	v_add_f16_e32 v81, v47, v49
	v_add_f16_e32 v47, v37, v33
	v_fmamk_f16 v82, v34, 0x3aee, v5
	v_fmac_f16_e32 v5, 0xbaee, v34
	v_add_f16_e32 v34, v41, v42
	v_add_f16_e32 v49, v33, v13
	v_fmac_f16_e32 v13, -0.5, v47
	v_sub_f16_e32 v47, v42, v41
	v_add_f16_e32 v42, v42, v3
	v_fmac_f16_e32 v3, -0.5, v34
	v_sub_f16_e32 v33, v33, v37
	v_add_f16_e32 v48, v46, v60
	v_fmamk_f16 v46, v59, 0xbaee, v9
	v_add_f16_e32 v83, v41, v42
	v_add_f16_e32 v41, v31, v32
	v_fmamk_f16 v84, v33, 0x3aee, v3
	v_fmac_f16_e32 v3, 0xbaee, v33
	v_add_f16_e32 v33, v35, v36
	v_add_f16_e32 v42, v32, v10
	v_fmac_f16_e32 v10, -0.5, v41
	v_sub_f16_e32 v41, v36, v35
	v_add_f16_e32 v36, v36, v2
	v_fmac_f16_e32 v2, -0.5, v33
	v_add_f16_e32 v33, v31, v42
	v_sub_f16_e32 v31, v32, v31
	v_fmamk_f16 v32, v41, 0xbaee, v10
	v_add_f16_e32 v36, v35, v36
	v_add_f16_e32 v35, v23, v28
	v_fmac_f16_e32 v10, 0x3aee, v41
	v_fmamk_f16 v85, v31, 0x3aee, v2
	v_fmac_f16_e32 v2, 0xbaee, v31
	v_add_f16_e32 v31, v29, v30
	v_add_f16_e32 v41, v28, v19
	v_fmac_f16_e32 v19, -0.5, v35
	v_sub_f16_e32 v35, v30, v29
	v_add_f16_e32 v30, v30, v1
	v_fmac_f16_e32 v1, -0.5, v31
	v_add_f16_e32 v31, v23, v41
	v_sub_f16_e32 v23, v28, v23
	v_fmamk_f16 v28, v35, 0xbaee, v19
	v_add_f16_e32 v30, v29, v30
	v_add_f16_e32 v29, v20, v21
	v_fmac_f16_e32 v19, 0x3aee, v35
	v_fmamk_f16 v86, v23, 0x3aee, v1
	v_fmac_f16_e32 v1, 0xbaee, v23
	v_add_f16_e32 v23, v22, v27
	v_add_f16_e32 v35, v21, v18
	v_fmac_f16_e32 v18, -0.5, v29
	v_sub_f16_e32 v29, v27, v22
	v_fmac_f16_e32 v9, 0x3aee, v59
	v_fmamk_f16 v45, v57, 0xbaee, v8
	v_fmac_f16_e32 v8, 0x3aee, v57
	v_add_f16_e32 v39, v38, v55
	v_fmamk_f16 v38, v53, 0xbaee, v17
	v_fmac_f16_e32 v17, 0x3aee, v53
	v_add_f16_e32 v34, v37, v49
	;; [unrolled: 3-line block ×3, first 2 shown]
	v_fmac_f16_e32 v0, -0.5, v23
	v_add_f16_e32 v23, v20, v35
	v_sub_f16_e32 v20, v21, v20
	v_fmamk_f16 v21, v29, 0xbaee, v18
	v_fmac_f16_e32 v18, 0x3aee, v29
	ds_write_b16 v87, v54
	ds_write_b16 v87, v63 offset:2
	ds_write_b16 v87, v15 offset:4
	;; [unrolled: 1-line block ×28, first 2 shown]
	v_lshl_add_u32 v29, v26, 1, 0
	v_and_b32_e32 v28, 0xff, v26
	v_add_nc_u32_e32 v33, 0xfa, v26
	v_mov_b32_e32 v12, 0xaaab
	ds_write_b16 v87, v18 offset:6754
	s_waitcnt lgkmcnt(0)
	s_barrier
	buffer_gl0_inv
	ds_read_u16 v59, v29 offset:3500
	ds_read_u16 v56, v29 offset:3750
	ds_read_u16 v42, v29
	ds_read_u16 v41, v29 offset:250
	ds_read_u16 v40, v29 offset:500
	;; [unrolled: 1-line block ×27, first 2 shown]
	s_waitcnt lgkmcnt(0)
	s_barrier
	buffer_gl0_inv
	ds_write_b16 v87, v67
	ds_write_b16 v87, v73 offset:2
	ds_write_b16 v87, v16 offset:4
	;; [unrolled: 1-line block ×12, first 2 shown]
	v_mul_lo_u16 v6, 0xab, v28
	ds_write_b16 v87, v80 offset:3002
	ds_write_b16 v87, v4 offset:3004
	;; [unrolled: 1-line block ×12, first 2 shown]
	v_mul_u32_u24_sdwa v2, v33, v12 dst_sel:DWORD dst_unused:UNUSED_PAD src0_sel:WORD_0 src1_sel:DWORD
	v_fmamk_f16 v88, v20, 0x3aee, v0
	v_fmac_f16_e32 v0, 0xbaee, v20
	v_lshrrev_b16 v43, 9, v6
	v_add_nc_u32_e32 v32, 0x7d, v26
	v_lshrrev_b32_e32 v44, 17, v2
	v_add_f16_e32 v22, v22, v27
	ds_write_b16 v87, v86 offset:6002
	ds_write_b16 v87, v1 offset:6004
	;; [unrolled: 1-line block ×4, first 2 shown]
	v_mul_lo_u16 v3, v43, 3
	ds_write_b16 v87, v0 offset:6754
	v_add_nc_u32_e32 v34, 0x177, v26
	v_mul_lo_u16 v0, v44, 3
	v_and_b32_e32 v36, 0xff, v32
	v_sub_nc_u16 v52, v26, v3
	v_mov_b32_e32 v27, 4
	v_mul_u32_u24_sdwa v2, v34, v12 dst_sel:DWORD dst_unused:UNUSED_PAD src0_sel:WORD_0 src1_sel:DWORD
	v_sub_nc_u16 v54, v33, v0
	v_mul_lo_u16 v13, 0xab, v36
	s_waitcnt lgkmcnt(0)
	v_lshlrev_b32_sdwa v1, v27, v52 dst_sel:DWORD dst_unused:UNUSED_PAD src0_sel:DWORD src1_sel:BYTE_0
	v_lshrrev_b32_e32 v46, 17, v2
	v_lshlrev_b32_sdwa v0, v27, v54 dst_sel:DWORD dst_unused:UNUSED_PAD src0_sel:DWORD src1_sel:WORD_0
	v_lshrrev_b16 v67, 9, v13
	s_barrier
	buffer_gl0_inv
	s_clause 0x1
	global_load_dwordx4 v[8:11], v1, s[8:9]
	global_load_dwordx4 v[4:7], v0, s[8:9]
	v_mul_lo_u16 v1, v46, 3
	v_mul_lo_u16 v13, v67, 3
	v_add_nc_u32_e32 v31, 0x1f4, v26
	v_add_nc_u32_e32 v30, 0x271, v26
	v_cmp_gt_u32_e64 s0, 0x4b, v26
	v_sub_nc_u16 v50, v34, v1
	v_sub_nc_u16 v77, v32, v13
	v_mul_u32_u24_sdwa v13, v31, v12 dst_sel:DWORD dst_unused:UNUSED_PAD src0_sel:WORD_0 src1_sel:DWORD
	v_mul_u32_u24_sdwa v12, v30, v12 dst_sel:DWORD dst_unused:UNUSED_PAD src0_sel:WORD_0 src1_sel:DWORD
	v_lshlrev_b32_sdwa v0, v27, v50 dst_sel:DWORD dst_unused:UNUSED_PAD src0_sel:DWORD src1_sel:WORD_0
	v_lshlrev_b32_sdwa v14, v27, v77 dst_sel:DWORD dst_unused:UNUSED_PAD src0_sel:DWORD src1_sel:BYTE_0
	v_lshrrev_b32_e32 v75, 17, v13
	v_lshrrev_b32_e32 v73, 17, v12
	s_clause 0x1
	global_load_dwordx4 v[0:3], v0, s[8:9]
	global_load_dwordx4 v[20:23], v14, s[8:9]
	v_mul_lo_u16 v13, v75, 3
	v_mul_lo_u16 v12, v73, 3
	v_sub_nc_u16 v76, v31, v13
	v_sub_nc_u16 v74, v30, v12
	v_lshlrev_b32_sdwa v13, v27, v76 dst_sel:DWORD dst_unused:UNUSED_PAD src0_sel:DWORD src1_sel:WORD_0
	v_lshlrev_b32_sdwa v12, v27, v74 dst_sel:DWORD dst_unused:UNUSED_PAD src0_sel:DWORD src1_sel:WORD_0
	s_clause 0x1
	global_load_dwordx4 v[16:19], v13, s[8:9]
	global_load_dwordx4 v[12:15], v12, s[8:9]
	ds_read_u16 v81, v29 offset:3000
	ds_read_u16 v80, v29 offset:4500
	;; [unrolled: 1-line block ×25, first 2 shown]
	s_waitcnt vmcnt(5)
	v_mul_f16_sdwa v104, v69, v8 dst_sel:DWORD dst_unused:UNUSED_PAD src0_sel:DWORD src1_sel:WORD_1
	s_waitcnt lgkmcnt(24)
	v_mul_f16_sdwa v105, v81, v9 dst_sel:DWORD dst_unused:UNUSED_PAD src0_sel:DWORD src1_sel:WORD_1
	v_mul_f16_sdwa v106, v70, v9 dst_sel:DWORD dst_unused:UNUSED_PAD src0_sel:DWORD src1_sel:WORD_1
	s_waitcnt lgkmcnt(19)
	v_mul_f16_sdwa v103, v90, v8 dst_sel:DWORD dst_unused:UNUSED_PAD src0_sel:DWORD src1_sel:WORD_1
	v_mul_f16_sdwa v107, v80, v10 dst_sel:DWORD dst_unused:UNUSED_PAD src0_sel:DWORD src1_sel:WORD_1
	;; [unrolled: 1-line block ×4, first 2 shown]
	v_fma_f16 v90, v90, v8, -v104
	v_fmac_f16_e32 v105, v70, v9
	s_waitcnt vmcnt(4)
	v_mul_f16_sdwa v104, v78, v4 dst_sel:DWORD dst_unused:UNUSED_PAD src0_sel:DWORD src1_sel:WORD_1
	v_fma_f16 v81, v81, v9, -v106
	v_mul_f16_sdwa v9, v64, v4 dst_sel:DWORD dst_unused:UNUSED_PAD src0_sel:DWORD src1_sel:WORD_1
	v_fmac_f16_e32 v103, v69, v8
	v_mul_f16_sdwa v8, v71, v11 dst_sel:DWORD dst_unused:UNUSED_PAD src0_sel:DWORD src1_sel:WORD_1
	v_fmac_f16_e32 v107, v72, v10
	s_waitcnt lgkmcnt(17)
	v_mul_f16_sdwa v106, v88, v5 dst_sel:DWORD dst_unused:UNUSED_PAD src0_sel:DWORD src1_sel:WORD_1
	v_fma_f16 v108, v80, v10, -v108
	v_mul_f16_sdwa v10, v59, v5 dst_sel:DWORD dst_unused:UNUSED_PAD src0_sel:DWORD src1_sel:WORD_1
	v_fmac_f16_e32 v109, v71, v11
	s_waitcnt vmcnt(3) lgkmcnt(5)
	v_mul_f16_sdwa v71, v102, v0 dst_sel:DWORD dst_unused:UNUSED_PAD src0_sel:DWORD src1_sel:WORD_1
	v_mul_f16_sdwa v70, v62, v0 dst_sel:DWORD dst_unused:UNUSED_PAD src0_sel:DWORD src1_sel:WORD_1
	v_fmac_f16_e32 v104, v64, v4
	v_mul_f16_sdwa v69, v83, v1 dst_sel:DWORD dst_unused:UNUSED_PAD src0_sel:DWORD src1_sel:WORD_1
	v_fma_f16 v113, v78, v4, -v9
	v_mul_f16_sdwa v4, v56, v1 dst_sel:DWORD dst_unused:UNUSED_PAD src0_sel:DWORD src1_sel:WORD_1
	v_mul_f16_sdwa v110, v100, v6 dst_sel:DWORD dst_unused:UNUSED_PAD src0_sel:DWORD src1_sel:WORD_1
	v_fma_f16 v111, v79, v11, -v8
	v_mul_f16_sdwa v8, v66, v6 dst_sel:DWORD dst_unused:UNUSED_PAD src0_sel:DWORD src1_sel:WORD_1
	v_fmac_f16_e32 v106, v59, v5
	v_fma_f16 v88, v88, v5, -v10
	v_mul_f16_sdwa v5, v63, v2 dst_sel:DWORD dst_unused:UNUSED_PAD src0_sel:DWORD src1_sel:WORD_1
	v_fmac_f16_e32 v71, v62, v0
	v_fma_f16 v78, v102, v0, -v70
	v_fmac_f16_e32 v69, v56, v1
	v_fma_f16 v79, v83, v1, -v4
	s_waitcnt vmcnt(2)
	v_mul_f16_sdwa v0, v57, v20 dst_sel:DWORD dst_unused:UNUSED_PAD src0_sel:DWORD src1_sel:WORD_1
	v_mul_f16_sdwa v1, v58, v21 dst_sel:DWORD dst_unused:UNUSED_PAD src0_sel:DWORD src1_sel:WORD_1
	;; [unrolled: 1-line block ×4, first 2 shown]
	v_fmac_f16_e32 v110, v66, v6
	v_fma_f16 v100, v100, v6, -v8
	v_mul_f16_sdwa v6, v65, v3 dst_sel:DWORD dst_unused:UNUSED_PAD src0_sel:DWORD src1_sel:WORD_1
	v_fma_f16 v70, v87, v2, -v5
	v_mul_f16_sdwa v83, v82, v20 dst_sel:DWORD dst_unused:UNUSED_PAD src0_sel:DWORD src1_sel:WORD_1
	v_mul_f16_sdwa v87, v84, v21 dst_sel:DWORD dst_unused:UNUSED_PAD src0_sel:DWORD src1_sel:WORD_1
	v_fma_f16 v82, v82, v20, -v0
	v_mul_f16_sdwa v0, v60, v22 dst_sel:DWORD dst_unused:UNUSED_PAD src0_sel:DWORD src1_sel:WORD_1
	v_fma_f16 v84, v84, v21, -v1
	v_mul_f16_sdwa v1, v61, v23 dst_sel:DWORD dst_unused:UNUSED_PAD src0_sel:DWORD src1_sel:WORD_1
	v_mul_f16_sdwa v11, v68, v7 dst_sel:DWORD dst_unused:UNUSED_PAD src0_sel:DWORD src1_sel:WORD_1
	v_mul_f16_sdwa v80, v99, v3 dst_sel:DWORD dst_unused:UNUSED_PAD src0_sel:DWORD src1_sel:WORD_1
	v_fmac_f16_e32 v112, v68, v7
	v_fma_f16 v68, v99, v3, -v6
	v_fmac_f16_e32 v83, v57, v20
	v_mul_f16_sdwa v99, v96, v22 dst_sel:DWORD dst_unused:UNUSED_PAD src0_sel:DWORD src1_sel:WORD_1
	v_fmac_f16_e32 v87, v58, v21
	v_mul_f16_sdwa v102, v98, v23 dst_sel:DWORD dst_unused:UNUSED_PAD src0_sel:DWORD src1_sel:WORD_1
	v_fma_f16 v96, v96, v22, -v0
	s_waitcnt vmcnt(1) lgkmcnt(4)
	v_mul_f16_sdwa v21, v97, v16 dst_sel:DWORD dst_unused:UNUSED_PAD src0_sel:DWORD src1_sel:WORD_1
	v_mul_f16_sdwa v0, v51, v16 dst_sel:DWORD dst_unused:UNUSED_PAD src0_sel:DWORD src1_sel:WORD_1
	v_fma_f16 v98, v98, v23, -v1
	s_waitcnt lgkmcnt(3)
	v_mul_f16_sdwa v20, v94, v17 dst_sel:DWORD dst_unused:UNUSED_PAD src0_sel:DWORD src1_sel:WORD_1
	v_mul_f16_sdwa v1, v48, v17 dst_sel:DWORD dst_unused:UNUSED_PAD src0_sel:DWORD src1_sel:WORD_1
	v_fmac_f16_e32 v21, v51, v16
	v_fma_f16 v16, v97, v16, -v0
	v_mul_f16_sdwa v0, v53, v18 dst_sel:DWORD dst_unused:UNUSED_PAD src0_sel:DWORD src1_sel:WORD_1
	v_fmac_f16_e32 v20, v48, v17
	v_fma_f16 v17, v94, v17, -v1
	v_mul_f16_sdwa v1, v55, v19 dst_sel:DWORD dst_unused:UNUSED_PAD src0_sel:DWORD src1_sel:WORD_1
	v_fma_f16 v101, v101, v7, -v11
	v_fmac_f16_e32 v99, v60, v22
	v_mul_f16_sdwa v22, v85, v18 dst_sel:DWORD dst_unused:UNUSED_PAD src0_sel:DWORD src1_sel:WORD_1
	v_fma_f16 v11, v85, v18, -v0
	v_fma_f16 v10, v91, v19, -v1
	s_waitcnt vmcnt(0)
	v_mul_f16_sdwa v0, v45, v12 dst_sel:DWORD dst_unused:UNUSED_PAD src0_sel:DWORD src1_sel:WORD_1
	v_mul_f16_sdwa v1, v49, v13 dst_sel:DWORD dst_unused:UNUSED_PAD src0_sel:DWORD src1_sel:WORD_1
	ds_read_u16 v85, v29
	v_fmac_f16_e32 v80, v65, v3
	s_waitcnt lgkmcnt(3)
	v_mul_f16_sdwa v7, v93, v12 dst_sel:DWORD dst_unused:UNUSED_PAD src0_sel:DWORD src1_sel:WORD_1
	s_waitcnt lgkmcnt(2)
	v_mul_f16_sdwa v5, v92, v13 dst_sel:DWORD dst_unused:UNUSED_PAD src0_sel:DWORD src1_sel:WORD_1
	v_mul_f16_sdwa v8, v89, v14 dst_sel:DWORD dst_unused:UNUSED_PAD src0_sel:DWORD src1_sel:WORD_1
	v_fma_f16 v3, v93, v12, -v0
	v_fma_f16 v4, v92, v13, -v1
	v_mul_f16_sdwa v0, v35, v14 dst_sel:DWORD dst_unused:UNUSED_PAD src0_sel:DWORD src1_sel:WORD_1
	v_add_f16_e32 v1, v105, v107
	v_fmac_f16_e32 v72, v63, v2
	v_fmac_f16_e32 v102, v61, v23
	v_mul_f16_sdwa v23, v91, v19 dst_sel:DWORD dst_unused:UNUSED_PAD src0_sel:DWORD src1_sel:WORD_1
	v_fmac_f16_e32 v7, v45, v12
	v_fmac_f16_e32 v5, v49, v13
	v_mul_f16_sdwa v9, v86, v15 dst_sel:DWORD dst_unused:UNUSED_PAD src0_sel:DWORD src1_sel:WORD_1
	v_fmac_f16_e32 v8, v35, v14
	v_mul_f16_sdwa v6, v47, v15 dst_sel:DWORD dst_unused:UNUSED_PAD src0_sel:DWORD src1_sel:WORD_1
	v_fma_f16 v2, v89, v14, -v0
	v_fma_f16 v12, -0.5, v1, v42
	v_sub_f16_e32 v0, v90, v111
	v_sub_f16_e32 v1, v103, v105
	v_add_f16_e32 v13, v103, v109
	v_sub_f16_e32 v14, v109, v107
	v_fmac_f16_e32 v22, v53, v18
	v_fmac_f16_e32 v23, v55, v19
	;; [unrolled: 1-line block ×3, first 2 shown]
	v_add_f16_e32 v18, v42, v103
	v_fmamk_f16 v19, v0, 0xbb9c, v12
	v_sub_f16_e32 v35, v81, v108
	v_fmac_f16_e32 v42, -0.5, v13
	v_fma_f16 v6, v86, v15, -v6
	v_fmac_f16_e32 v12, 0x3b9c, v0
	v_add_f16_e32 v1, v1, v14
	v_sub_f16_e32 v14, v105, v103
	v_sub_f16_e32 v15, v107, v109
	v_fmac_f16_e32 v19, 0xb8b4, v35
	v_fmamk_f16 v13, v35, 0x3b9c, v42
	v_fmac_f16_e32 v42, 0xbb9c, v35
	v_add_f16_e32 v18, v18, v105
	v_fmac_f16_e32 v12, 0x38b4, v35
	v_add_f16_e32 v14, v14, v15
	v_add_f16_e32 v15, v81, v108
	v_sub_f16_e32 v35, v90, v81
	v_sub_f16_e32 v45, v111, v108
	v_add_f16_e32 v47, v90, v111
	s_waitcnt lgkmcnt(0)
	v_add_f16_e32 v48, v85, v90
	v_fmac_f16_e32 v13, 0xb8b4, v0
	v_fmac_f16_e32 v42, 0x38b4, v0
	v_add_f16_e32 v0, v18, v107
	v_sub_f16_e32 v18, v103, v109
	v_fma_f16 v15, -0.5, v15, v85
	v_sub_f16_e32 v49, v105, v107
	v_add_f16_e32 v35, v35, v45
	v_fmac_f16_e32 v85, -0.5, v47
	v_add_f16_e32 v45, v48, v81
	v_sub_f16_e32 v47, v81, v90
	v_sub_f16_e32 v48, v108, v111
	v_fmamk_f16 v91, v18, 0x3b9c, v15
	v_fmac_f16_e32 v15, 0xbb9c, v18
	v_fmamk_f16 v81, v49, 0xbb9c, v85
	v_fmac_f16_e32 v85, 0x3b9c, v49
	v_add_f16_e32 v45, v45, v108
	v_add_f16_e32 v47, v47, v48
	;; [unrolled: 1-line block ×3, first 2 shown]
	v_fmac_f16_e32 v91, 0x38b4, v49
	v_fmac_f16_e32 v15, 0xb8b4, v49
	;; [unrolled: 1-line block ×4, first 2 shown]
	v_add_f16_e32 v18, v45, v111
	v_fma_f16 v45, -0.5, v48, v41
	v_sub_f16_e32 v48, v82, v98
	v_sub_f16_e32 v49, v83, v87
	;; [unrolled: 1-line block ×3, first 2 shown]
	v_add_f16_e32 v53, v83, v102
	v_fmac_f16_e32 v91, 0x34f2, v35
	v_fmac_f16_e32 v15, 0x34f2, v35
	v_fmamk_f16 v55, v48, 0xbb9c, v45
	v_sub_f16_e32 v35, v84, v96
	v_fmac_f16_e32 v45, 0x3b9c, v48
	v_add_f16_e32 v49, v49, v51
	v_add_f16_e32 v51, v41, v83
	v_fmac_f16_e32 v41, -0.5, v53
	v_fmac_f16_e32 v55, 0xb8b4, v35
	v_fmac_f16_e32 v45, 0x38b4, v35
	v_fmac_f16_e32 v81, 0x34f2, v47
	v_fmac_f16_e32 v85, 0x34f2, v47
	v_sub_f16_e32 v47, v87, v83
	v_sub_f16_e32 v53, v99, v102
	v_fmamk_f16 v56, v35, 0x3b9c, v41
	v_fmac_f16_e32 v41, 0xbb9c, v35
	v_fmac_f16_e32 v55, 0x34f2, v49
	;; [unrolled: 1-line block ×3, first 2 shown]
	v_add_f16_e32 v35, v47, v53
	v_fmac_f16_e32 v56, 0xb8b4, v48
	v_add_f16_e32 v47, v106, v110
	v_sub_f16_e32 v49, v104, v106
	v_sub_f16_e32 v53, v112, v110
	v_fmac_f16_e32 v41, 0x38b4, v48
	v_add_f16_e32 v48, v104, v112
	v_fma_f16 v47, -0.5, v47, v40
	v_sub_f16_e32 v57, v113, v101
	v_add_f16_e32 v49, v49, v53
	v_add_f16_e32 v53, v40, v104
	v_fmac_f16_e32 v40, -0.5, v48
	v_sub_f16_e32 v48, v88, v100
	v_fmamk_f16 v58, v57, 0xbb9c, v47
	v_fmac_f16_e32 v47, 0x3b9c, v57
	v_sub_f16_e32 v59, v106, v104
	v_sub_f16_e32 v60, v110, v112
	v_fmamk_f16 v61, v48, 0x3b9c, v40
	v_fmac_f16_e32 v40, 0xbb9c, v48
	v_fmac_f16_e32 v58, 0xb8b4, v48
	;; [unrolled: 1-line block ×3, first 2 shown]
	v_add_f16_e32 v48, v59, v60
	v_fmac_f16_e32 v61, 0xb8b4, v57
	v_fmac_f16_e32 v40, 0x38b4, v57
	v_add_f16_e32 v57, v69, v72
	v_fmac_f16_e32 v56, 0x34f2, v35
	v_fmac_f16_e32 v41, 0x34f2, v35
	;; [unrolled: 1-line block ×5, first 2 shown]
	v_fma_f16 v49, -0.5, v57, v38
	v_sub_f16_e32 v35, v78, v68
	v_fmac_f16_e32 v40, 0x34f2, v48
	v_sub_f16_e32 v48, v71, v69
	v_sub_f16_e32 v57, v80, v72
	v_add_f16_e32 v59, v71, v80
	v_fmamk_f16 v60, v35, 0xbb9c, v49
	v_sub_f16_e32 v62, v79, v70
	v_fmac_f16_e32 v49, 0x3b9c, v35
	v_add_f16_e32 v48, v48, v57
	v_add_f16_e32 v57, v38, v71
	v_fmac_f16_e32 v38, -0.5, v59
	v_fmac_f16_e32 v60, 0xb8b4, v62
	v_fmac_f16_e32 v49, 0x38b4, v62
	v_sub_f16_e32 v59, v69, v71
	v_sub_f16_e32 v63, v72, v80
	v_fmamk_f16 v64, v62, 0x3b9c, v38
	v_fmac_f16_e32 v38, 0xbb9c, v62
	v_fmac_f16_e32 v60, 0x34f2, v48
	v_fmac_f16_e32 v49, 0x34f2, v48
	v_add_f16_e32 v48, v59, v63
	v_fmac_f16_e32 v64, 0xb8b4, v35
	v_add_f16_e32 v59, v20, v22
	v_sub_f16_e32 v62, v21, v20
	v_sub_f16_e32 v63, v23, v22
	v_fmac_f16_e32 v38, 0x38b4, v35
	v_add_f16_e32 v35, v21, v23
	v_fma_f16 v59, -0.5, v59, v37
	v_sub_f16_e32 v65, v16, v10
	v_add_f16_e32 v62, v62, v63
	v_add_f16_e32 v63, v37, v21
	v_fmac_f16_e32 v37, -0.5, v35
	v_sub_f16_e32 v35, v17, v11
	v_fmamk_f16 v66, v65, 0xbb9c, v59
	v_fmac_f16_e32 v59, 0x3b9c, v65
	v_sub_f16_e32 v90, v20, v21
	v_sub_f16_e32 v92, v22, v23
	v_fmamk_f16 v93, v35, 0x3b9c, v37
	v_fmac_f16_e32 v37, 0xbb9c, v35
	v_fmac_f16_e32 v66, 0xb8b4, v35
	;; [unrolled: 1-line block ×3, first 2 shown]
	v_add_f16_e32 v35, v90, v92
	v_fmac_f16_e32 v93, 0xb8b4, v65
	v_fmac_f16_e32 v37, 0x38b4, v65
	;; [unrolled: 1-line block ×4, first 2 shown]
	v_add_f16_e32 v48, v5, v8
	v_fmac_f16_e32 v66, 0x34f2, v62
	v_fmac_f16_e32 v59, 0x34f2, v62
	v_sub_f16_e32 v62, v7, v5
	v_sub_f16_e32 v65, v9, v8
	v_fmac_f16_e32 v93, 0x34f2, v35
	v_fma_f16 v48, -0.5, v48, v39
	v_sub_f16_e32 v90, v3, v6
	v_fmac_f16_e32 v37, 0x34f2, v35
	v_add_f16_e32 v35, v7, v9
	v_add_f16_e32 v62, v62, v65
	;; [unrolled: 1-line block ×3, first 2 shown]
	v_fmamk_f16 v92, v90, 0xbb9c, v48
	v_sub_f16_e32 v94, v4, v2
	v_fmac_f16_e32 v48, 0x3b9c, v90
	v_fmac_f16_e32 v39, -0.5, v35
	v_sub_f16_e32 v35, v5, v7
	v_sub_f16_e32 v97, v8, v9
	v_fmac_f16_e32 v92, 0xb8b4, v94
	v_fmac_f16_e32 v48, 0x38b4, v94
	v_fmamk_f16 v103, v94, 0x3b9c, v39
	v_fmac_f16_e32 v39, 0xbb9c, v94
	v_add_f16_e32 v94, v35, v97
	v_mov_b32_e32 v97, 30
	v_mov_b32_e32 v35, 1
	v_fmac_f16_e32 v103, 0xb8b4, v90
	v_fmac_f16_e32 v39, 0x38b4, v90
	;; [unrolled: 1-line block ×3, first 2 shown]
	v_mul_u32_u24_sdwa v43, v43, v97 dst_sel:DWORD dst_unused:UNUSED_PAD src0_sel:WORD_0 src1_sel:DWORD
	v_lshlrev_b32_sdwa v52, v35, v52 dst_sel:DWORD dst_unused:UNUSED_PAD src0_sel:DWORD src1_sel:BYTE_0
	v_fmac_f16_e32 v42, 0x34f2, v14
	v_add_f16_e32 v14, v0, v109
	v_fmac_f16_e32 v19, 0x34f2, v1
	v_fmac_f16_e32 v12, 0x34f2, v1
	v_add3_u32 v90, 0, v43, v52
	v_add_f16_e32 v43, v51, v87
	v_mul_u32_u24_sdwa v51, v67, v97 dst_sel:DWORD dst_unused:UNUSED_PAD src0_sel:WORD_0 src1_sel:DWORD
	v_lshlrev_b32_sdwa v52, v35, v77 dst_sel:DWORD dst_unused:UNUSED_PAD src0_sel:DWORD src1_sel:BYTE_0
	ds_read_u16 v86, v29 offset:250
	ds_read_u16 v89, v29 offset:500
	;; [unrolled: 1-line block ×4, first 2 shown]
	s_waitcnt lgkmcnt(0)
	v_add_f16_e32 v43, v43, v99
	s_barrier
	buffer_gl0_inv
	ds_write_b16 v90, v14
	ds_write_b16 v90, v19 offset:6
	v_add3_u32 v14, 0, v51, v52
	v_add_f16_e32 v19, v43, v102
	ds_write_b16 v90, v13 offset:12
	ds_write_b16 v90, v42 offset:18
	;; [unrolled: 1-line block ×3, first 2 shown]
	v_add_f16_e32 v12, v53, v106
	ds_write_b16 v14, v19
	ds_write_b16 v14, v55 offset:6
	v_mul_u32_u24_e32 v13, 30, v44
	v_lshlrev_b32_sdwa v19, v35, v54 dst_sel:DWORD dst_unused:UNUSED_PAD src0_sel:DWORD src1_sel:WORD_0
	ds_write_b16 v14, v56 offset:12
	ds_write_b16 v14, v41 offset:18
	v_add_f16_e32 v41, v57, v69
	v_add_f16_e32 v12, v12, v110
	v_lshlrev_b32_sdwa v42, v35, v50 dst_sel:DWORD dst_unused:UNUSED_PAD src0_sel:DWORD src1_sel:WORD_0
	v_add3_u32 v13, 0, v13, v19
	v_mul_u32_u24_e32 v19, 30, v46
	v_add_f16_e32 v41, v41, v72
	v_add_f16_e32 v12, v12, v112
	ds_write_b16 v14, v45 offset:24
	ds_write_b16 v13, v12
	ds_write_b16 v13, v58 offset:6
	v_add3_u32 v12, 0, v19, v42
	v_add_f16_e32 v19, v41, v80
	ds_write_b16 v13, v61 offset:12
	ds_write_b16 v13, v40 offset:18
	v_add_f16_e32 v40, v63, v20
	ds_write_b16 v13, v47 offset:24
	ds_write_b16 v12, v19
	v_mul_u32_u24_e32 v19, 30, v75
	v_lshlrev_b32_sdwa v41, v35, v76 dst_sel:DWORD dst_unused:UNUSED_PAD src0_sel:DWORD src1_sel:WORD_0
	v_add_f16_e32 v42, v65, v5
	v_add_f16_e32 v40, v40, v22
	v_lshlrev_b32_sdwa v43, v35, v74 dst_sel:DWORD dst_unused:UNUSED_PAD src0_sel:DWORD src1_sel:WORD_0
	v_fmac_f16_e32 v48, 0x34f2, v62
	v_add3_u32 v19, 0, v19, v41
	v_mul_u32_u24_e32 v41, 30, v73
	v_add_f16_e32 v42, v42, v8
	v_add_f16_e32 v40, v40, v23
	v_fmac_f16_e32 v39, 0x34f2, v94
	ds_write_b16 v12, v60 offset:6
	ds_write_b16 v12, v64 offset:12
	;; [unrolled: 1-line block ×4, first 2 shown]
	ds_write_b16 v19, v40
	v_add3_u32 v73, 0, v41, v43
	v_add_f16_e32 v38, v42, v9
	v_fmac_f16_e32 v92, 0x34f2, v62
	v_fmac_f16_e32 v103, 0x34f2, v94
	ds_write_b16 v19, v66 offset:6
	ds_write_b16 v19, v93 offset:12
	;; [unrolled: 1-line block ×4, first 2 shown]
	ds_write_b16 v73, v38
	ds_write_b16 v73, v92 offset:6
	ds_write_b16 v73, v103 offset:12
	;; [unrolled: 1-line block ×4, first 2 shown]
	s_waitcnt lgkmcnt(0)
	s_barrier
	buffer_gl0_inv
	ds_read_u16 v52, v29 offset:3500
	ds_read_u16 v49, v29 offset:3750
	ds_read_u16 v42, v29
	ds_read_u16 v41, v29 offset:250
	ds_read_u16 v40, v29 offset:500
	;; [unrolled: 1-line block ×27, first 2 shown]
	s_waitcnt lgkmcnt(0)
	s_barrier
	buffer_gl0_inv
	ds_write_b16 v90, v18
	ds_write_b16 v90, v91 offset:6
	ds_write_b16 v90, v81 offset:12
	;; [unrolled: 1-line block ×3, first 2 shown]
	v_add_f16_e32 v18, v84, v96
	v_add_f16_e32 v67, v82, v98
	;; [unrolled: 1-line block ×3, first 2 shown]
	v_sub_f16_e32 v75, v98, v96
	v_sub_f16_e32 v76, v83, v102
	v_fma_f16 v18, -0.5, v18, v86
	v_fmac_f16_e32 v86, -0.5, v67
	v_add_f16_e32 v67, v74, v84
	v_sub_f16_e32 v74, v82, v84
	ds_write_b16 v90, v15 offset:24
	v_sub_f16_e32 v15, v87, v99
	v_sub_f16_e32 v77, v84, v82
	;; [unrolled: 1-line block ×3, first 2 shown]
	v_add_f16_e32 v74, v74, v75
	v_fmamk_f16 v75, v76, 0x3b9c, v18
	v_fmamk_f16 v82, v15, 0xbb9c, v86
	v_fmac_f16_e32 v86, 0x3b9c, v15
	v_add_f16_e32 v67, v67, v96
	v_fmac_f16_e32 v18, 0xbb9c, v76
	v_fmac_f16_e32 v75, 0x38b4, v15
	v_add_f16_e32 v77, v77, v81
	v_fmac_f16_e32 v82, 0x38b4, v76
	v_fmac_f16_e32 v86, 0xb8b4, v76
	;; [unrolled: 1-line block ×3, first 2 shown]
	v_add_f16_e32 v15, v67, v98
	v_fmac_f16_e32 v75, 0x34f2, v74
	v_fmac_f16_e32 v82, 0x34f2, v77
	;; [unrolled: 1-line block ×4, first 2 shown]
	ds_write_b16 v14, v15
	ds_write_b16 v14, v75 offset:6
	ds_write_b16 v14, v82 offset:12
	;; [unrolled: 1-line block ×3, first 2 shown]
	v_add_f16_e32 v15, v88, v100
	v_add_f16_e32 v67, v113, v101
	;; [unrolled: 1-line block ×3, first 2 shown]
	ds_write_b16 v14, v18 offset:24
	v_sub_f16_e32 v75, v104, v112
	v_fma_f16 v15, -0.5, v15, v89
	v_fmac_f16_e32 v89, -0.5, v67
	v_add_f16_e32 v18, v74, v88
	v_sub_f16_e32 v67, v113, v88
	v_sub_f16_e32 v74, v101, v100
	;; [unrolled: 1-line block ×5, first 2 shown]
	v_add_f16_e32 v18, v18, v100
	v_add_f16_e32 v67, v67, v74
	v_fmamk_f16 v74, v75, 0x3b9c, v15
	v_fmamk_f16 v81, v14, 0xbb9c, v89
	v_fmac_f16_e32 v89, 0x3b9c, v14
	v_fmac_f16_e32 v15, 0xbb9c, v75
	v_add_f16_e32 v76, v76, v77
	v_fmac_f16_e32 v74, 0x38b4, v14
	v_fmac_f16_e32 v81, 0x38b4, v75
	;; [unrolled: 1-line block ×4, first 2 shown]
	v_add_f16_e32 v14, v18, v101
	v_fmac_f16_e32 v74, 0x34f2, v67
	v_fmac_f16_e32 v81, 0x34f2, v76
	;; [unrolled: 1-line block ×4, first 2 shown]
	ds_write_b16 v13, v14
	ds_write_b16 v13, v74 offset:6
	ds_write_b16 v13, v81 offset:12
	;; [unrolled: 1-line block ×3, first 2 shown]
	v_add_f16_e32 v14, v79, v70
	v_sub_f16_e32 v18, v68, v70
	v_add_f16_e32 v67, v78, v68
	ds_write_b16 v13, v15 offset:24
	v_sub_f16_e32 v13, v71, v80
	v_sub_f16_e32 v15, v78, v79
	v_fma_f16 v14, -0.5, v14, v1
	v_add_f16_e32 v71, v1, v78
	v_sub_f16_e32 v69, v69, v72
	v_fmac_f16_e32 v1, -0.5, v67
	v_add_f16_e32 v15, v15, v18
	v_fmamk_f16 v18, v13, 0x3b9c, v14
	v_add_f16_e32 v67, v71, v79
	v_fmac_f16_e32 v14, 0xbb9c, v13
	v_sub_f16_e32 v71, v79, v78
	v_sub_f16_e32 v72, v70, v68
	v_fmac_f16_e32 v18, 0x38b4, v69
	v_fmamk_f16 v74, v69, 0xbb9c, v1
	v_fmac_f16_e32 v1, 0x3b9c, v69
	v_add_f16_e32 v67, v67, v70
	v_fmac_f16_e32 v14, 0xb8b4, v69
	v_add_f16_e32 v69, v71, v72
	v_fmac_f16_e32 v74, 0x38b4, v13
	v_fmac_f16_e32 v1, 0xb8b4, v13
	v_add_f16_e32 v13, v67, v68
	v_fmac_f16_e32 v18, 0x34f2, v15
	v_fmac_f16_e32 v14, 0x34f2, v15
	v_add_f16_e32 v15, v17, v11
	v_add_f16_e32 v68, v16, v10
	v_fmac_f16_e32 v74, 0x34f2, v69
	v_fmac_f16_e32 v1, 0x34f2, v69
	v_sub_f16_e32 v21, v21, v23
	v_sub_f16_e32 v23, v16, v17
	;; [unrolled: 1-line block ×3, first 2 shown]
	v_fma_f16 v15, -0.5, v15, v0
	v_add_f16_e32 v69, v0, v16
	v_sub_f16_e32 v20, v20, v22
	v_fmac_f16_e32 v0, -0.5, v68
	v_add_f16_e32 v22, v23, v67
	v_sub_f16_e32 v16, v17, v16
	v_add_f16_e32 v67, v69, v17
	v_sub_f16_e32 v17, v11, v10
	v_fmamk_f16 v68, v20, 0xbb9c, v0
	v_fmac_f16_e32 v0, 0x3b9c, v20
	v_fmamk_f16 v23, v21, 0x3b9c, v15
	v_fmac_f16_e32 v15, 0xbb9c, v21
	v_add_f16_e32 v16, v16, v17
	v_fmac_f16_e32 v68, 0x38b4, v21
	v_fmac_f16_e32 v0, 0xb8b4, v21
	;; [unrolled: 1-line block ×3, first 2 shown]
	v_add_f16_e32 v11, v67, v11
	v_fmac_f16_e32 v15, 0xb8b4, v20
	v_fmac_f16_e32 v68, 0x34f2, v16
	;; [unrolled: 1-line block ×3, first 2 shown]
	v_sub_f16_e32 v7, v7, v9
	v_sub_f16_e32 v9, v3, v4
	;; [unrolled: 1-line block ×3, first 2 shown]
	v_add_f16_e32 v20, v95, v3
	v_add_f16_e32 v10, v11, v10
	;; [unrolled: 1-line block ×4, first 2 shown]
	v_sub_f16_e32 v5, v5, v8
	v_add_f16_e32 v8, v9, v16
	v_add_f16_e32 v16, v20, v4
	v_sub_f16_e32 v3, v4, v3
	v_sub_f16_e32 v4, v2, v6
	v_fmac_f16_e32 v23, 0x34f2, v22
	v_fmac_f16_e32 v15, 0x34f2, v22
	v_fma_f16 v11, -0.5, v11, v95
	ds_write_b16 v12, v13
	ds_write_b16 v12, v18 offset:6
	v_add_f16_e32 v3, v3, v4
	v_mul_lo_u16 v4, 0x89, v28
	ds_write_b16 v12, v74 offset:12
	ds_write_b16 v12, v1 offset:18
	;; [unrolled: 1-line block ×3, first 2 shown]
	ds_write_b16 v19, v10
	ds_write_b16 v19, v23 offset:6
	ds_write_b16 v19, v68 offset:12
	;; [unrolled: 1-line block ×4, first 2 shown]
	v_fmac_f16_e32 v95, -0.5, v17
	v_fmamk_f16 v9, v7, 0x3b9c, v11
	v_lshrrev_b16 v28, 11, v4
	v_mul_lo_u16 v4, 0x89, v36
	v_fmac_f16_e32 v11, 0xbb9c, v7
	v_mov_b32_e32 v12, 0x8889
	v_fmamk_f16 v17, v5, 0xbb9c, v95
	v_mul_lo_u16 v1, v28, 15
	v_lshrrev_b16 v68, 11, v4
	v_fmac_f16_e32 v95, 0x3b9c, v5
	v_add_f16_e32 v2, v16, v2
	v_fmac_f16_e32 v11, 0xb8b4, v5
	v_sub_nc_u16 v67, v26, v1
	v_mul_lo_u16 v4, v68, 15
	v_fmac_f16_e32 v9, 0x38b4, v5
	v_fmac_f16_e32 v17, 0x38b4, v7
	;; [unrolled: 1-line block ×3, first 2 shown]
	v_add_f16_e32 v2, v2, v6
	v_sub_nc_u16 v70, v32, v4
	v_mul_u32_u24_sdwa v4, v33, v12 dst_sel:DWORD dst_unused:UNUSED_PAD src0_sel:WORD_0 src1_sel:DWORD
	v_fmac_f16_e32 v11, 0x34f2, v8
	v_lshlrev_b32_sdwa v0, v27, v67 dst_sel:DWORD dst_unused:UNUSED_PAD src0_sel:DWORD src1_sel:BYTE_0
	v_fmac_f16_e32 v9, 0x34f2, v8
	v_fmac_f16_e32 v17, 0x34f2, v3
	v_lshrrev_b32_e32 v69, 19, v4
	v_fmac_f16_e32 v95, 0x34f2, v3
	ds_write_b16 v73, v2
	ds_write_b16 v73, v9 offset:6
	ds_write_b16 v73, v17 offset:12
	;; [unrolled: 1-line block ×4, first 2 shown]
	s_waitcnt lgkmcnt(0)
	s_barrier
	buffer_gl0_inv
	global_load_dwordx4 v[0:3], v0, s[8:9] offset:48
	v_mul_lo_u16 v8, v69, 15
	v_lshlrev_b32_sdwa v5, v27, v70 dst_sel:DWORD dst_unused:UNUSED_PAD src0_sel:DWORD src1_sel:BYTE_0
	v_mul_u32_u24_sdwa v14, v31, v12 dst_sel:DWORD dst_unused:UNUSED_PAD src0_sel:WORD_0 src1_sel:DWORD
	v_sub_nc_u16 v72, v33, v8
	global_load_dwordx4 v[4:7], v5, s[8:9] offset:48
	v_mul_u32_u24_sdwa v8, v34, v12 dst_sel:DWORD dst_unused:UNUSED_PAD src0_sel:WORD_0 src1_sel:DWORD
	v_lshrrev_b32_e32 v76, 19, v14
	v_mul_u32_u24_sdwa v12, v30, v12 dst_sel:DWORD dst_unused:UNUSED_PAD src0_sel:WORD_0 src1_sel:DWORD
	v_lshlrev_b32_sdwa v9, v27, v72 dst_sel:DWORD dst_unused:UNUSED_PAD src0_sel:DWORD src1_sel:WORD_0
	v_lshrrev_b32_e32 v71, 19, v8
	v_mul_lo_u16 v14, v76, 15
	v_lshrrev_b32_e32 v74, 19, v12
	global_load_dwordx4 v[8:11], v9, s[8:9] offset:48
	v_mul_lo_u16 v13, v71, 15
	v_sub_nc_u16 v77, v31, v14
	v_mul_lo_u16 v12, v74, 15
	v_sub_nc_u16 v73, v34, v13
	v_sub_nc_u16 v75, v30, v12
	v_lshlrev_b32_sdwa v13, v27, v73 dst_sel:DWORD dst_unused:UNUSED_PAD src0_sel:DWORD src1_sel:WORD_0
	v_lshlrev_b32_sdwa v12, v27, v75 dst_sel:DWORD dst_unused:UNUSED_PAD src0_sel:DWORD src1_sel:WORD_0
	global_load_dwordx4 v[20:23], v13, s[8:9] offset:48
	v_lshlrev_b32_sdwa v13, v27, v77 dst_sel:DWORD dst_unused:UNUSED_PAD src0_sel:DWORD src1_sel:WORD_0
	s_clause 0x1
	global_load_dwordx4 v[16:19], v13, s[8:9] offset:48
	global_load_dwordx4 v[12:15], v12, s[8:9] offset:48
	ds_read_u16 v79, v29 offset:1500
	ds_read_u16 v78, v29 offset:3000
	;; [unrolled: 1-line block ×6, first 2 shown]
	s_waitcnt vmcnt(5) lgkmcnt(5)
	v_mul_f16_sdwa v85, v79, v0 dst_sel:DWORD dst_unused:UNUSED_PAD src0_sel:DWORD src1_sel:WORD_1
	v_mul_f16_sdwa v83, v66, v0 dst_sel:DWORD dst_unused:UNUSED_PAD src0_sel:DWORD src1_sel:WORD_1
	s_waitcnt lgkmcnt(4)
	v_mul_f16_sdwa v91, v78, v1 dst_sel:DWORD dst_unused:UNUSED_PAD src0_sel:DWORD src1_sel:WORD_1
	v_mul_f16_sdwa v92, v64, v1 dst_sel:DWORD dst_unused:UNUSED_PAD src0_sel:DWORD src1_sel:WORD_1
	s_waitcnt lgkmcnt(1)
	v_mul_f16_sdwa v98, v81, v2 dst_sel:DWORD dst_unused:UNUSED_PAD src0_sel:DWORD src1_sel:WORD_1
	v_fmac_f16_e32 v85, v66, v0
	ds_read_u16 v66, v29 offset:3250
	ds_read_u16 v84, v29 offset:3500
	;; [unrolled: 1-line block ×7, first 2 shown]
	v_fma_f16 v93, v79, v0, -v83
	ds_read_u16 v0, v29 offset:4000
	ds_read_u16 v79, v29 offset:4750
	;; [unrolled: 1-line block ×7, first 2 shown]
	v_fmac_f16_e32 v91, v64, v1
	v_fma_f16 v64, v78, v1, -v92
	v_mul_f16_sdwa v1, v65, v2 dst_sel:DWORD dst_unused:UNUSED_PAD src0_sel:DWORD src1_sel:WORD_1
	ds_read_u16 v78, v29 offset:6250
	ds_read_u16 v92, v29 offset:6500
	;; [unrolled: 1-line block ×5, first 2 shown]
	v_fmac_f16_e32 v98, v65, v2
	s_waitcnt lgkmcnt(19)
	v_mul_f16_sdwa v102, v82, v3 dst_sel:DWORD dst_unused:UNUSED_PAD src0_sel:DWORD src1_sel:WORD_1
	v_mul_f16_sdwa v65, v63, v3 dst_sel:DWORD dst_unused:UNUSED_PAD src0_sel:DWORD src1_sel:WORD_1
	v_fma_f16 v103, v81, v2, -v1
	s_waitcnt vmcnt(4)
	v_mul_f16_sdwa v1, v59, v4 dst_sel:DWORD dst_unused:UNUSED_PAD src0_sel:DWORD src1_sel:WORD_1
	v_mul_f16_sdwa v2, v60, v5 dst_sel:DWORD dst_unused:UNUSED_PAD src0_sel:DWORD src1_sel:WORD_1
	v_fmac_f16_e32 v102, v63, v3
	v_fma_f16 v63, v82, v3, -v65
	v_mul_f16_sdwa v104, v27, v4 dst_sel:DWORD dst_unused:UNUSED_PAD src0_sel:DWORD src1_sel:WORD_1
	v_fma_f16 v106, v27, v4, -v1
	v_mul_f16_sdwa v1, v61, v6 dst_sel:DWORD dst_unused:UNUSED_PAD src0_sel:DWORD src1_sel:WORD_1
	s_waitcnt lgkmcnt(18)
	v_fma_f16 v108, v66, v5, -v2
	v_mul_f16_sdwa v2, v62, v7 dst_sel:DWORD dst_unused:UNUSED_PAD src0_sel:DWORD src1_sel:WORD_1
	s_waitcnt vmcnt(3) lgkmcnt(15)
	v_mul_f16_sdwa v111, v87, v8 dst_sel:DWORD dst_unused:UNUSED_PAD src0_sel:DWORD src1_sel:WORD_1
	s_waitcnt lgkmcnt(10)
	v_mul_f16_sdwa v107, v79, v6 dst_sel:DWORD dst_unused:UNUSED_PAD src0_sel:DWORD src1_sel:WORD_1
	v_fma_f16 v110, v79, v6, -v1
	v_mul_f16_sdwa v1, v56, v8 dst_sel:DWORD dst_unused:UNUSED_PAD src0_sel:DWORD src1_sel:WORD_1
	s_waitcnt lgkmcnt(4)
	v_fma_f16 v112, v78, v7, -v2
	v_mul_f16_sdwa v2, v52, v9 dst_sel:DWORD dst_unused:UNUSED_PAD src0_sel:DWORD src1_sel:WORD_1
	v_mul_f16_sdwa v109, v78, v7 dst_sel:DWORD dst_unused:UNUSED_PAD src0_sel:DWORD src1_sel:WORD_1
	s_waitcnt lgkmcnt(3)
	v_mul_f16_sdwa v115, v92, v11 dst_sel:DWORD dst_unused:UNUSED_PAD src0_sel:DWORD src1_sel:WORD_1
	v_fma_f16 v87, v87, v8, -v1
	v_mul_f16_sdwa v1, v57, v10 dst_sel:DWORD dst_unused:UNUSED_PAD src0_sel:DWORD src1_sel:WORD_1
	v_fma_f16 v116, v84, v9, -v2
	v_mul_f16_sdwa v2, v58, v11 dst_sel:DWORD dst_unused:UNUSED_PAD src0_sel:DWORD src1_sel:WORD_1
	s_waitcnt vmcnt(2)
	v_mul_f16_sdwa v82, v86, v21 dst_sel:DWORD dst_unused:UNUSED_PAD src0_sel:DWORD src1_sel:WORD_1
	v_mul_f16_sdwa v114, v83, v10 dst_sel:DWORD dst_unused:UNUSED_PAD src0_sel:DWORD src1_sel:WORD_1
	v_fma_f16 v117, v83, v10, -v1
	v_mul_f16_sdwa v1, v53, v20 dst_sel:DWORD dst_unused:UNUSED_PAD src0_sel:DWORD src1_sel:WORD_1
	v_fma_f16 v92, v92, v11, -v2
	v_mul_f16_sdwa v2, v49, v21 dst_sel:DWORD dst_unused:UNUSED_PAD src0_sel:DWORD src1_sel:WORD_1
	v_fmac_f16_e32 v115, v58, v11
	v_mul_f16_sdwa v83, v88, v20 dst_sel:DWORD dst_unused:UNUSED_PAD src0_sel:DWORD src1_sel:WORD_1
	v_fma_f16 v79, v88, v20, -v1
	v_mul_f16_sdwa v1, v54, v22 dst_sel:DWORD dst_unused:UNUSED_PAD src0_sel:DWORD src1_sel:WORD_1
	v_fmac_f16_e32 v82, v49, v21
	v_fma_f16 v81, v86, v21, -v2
	v_mul_f16_sdwa v2, v55, v23 dst_sel:DWORD dst_unused:UNUSED_PAD src0_sel:DWORD src1_sel:WORD_1
	s_waitcnt vmcnt(1)
	v_mul_f16_sdwa v21, v0, v17 dst_sel:DWORD dst_unused:UNUSED_PAD src0_sel:DWORD src1_sel:WORD_1
	v_fma_f16 v78, v94, v22, -v1
	v_mul_f16_sdwa v1, v48, v16 dst_sel:DWORD dst_unused:UNUSED_PAD src0_sel:DWORD src1_sel:WORD_1
	v_fmac_f16_e32 v104, v59, v4
	v_mul_f16_sdwa v113, v84, v9 dst_sel:DWORD dst_unused:UNUSED_PAD src0_sel:DWORD src1_sel:WORD_1
	v_fmac_f16_e32 v83, v53, v20
	v_mul_f16_sdwa v84, v94, v22 dst_sel:DWORD dst_unused:UNUSED_PAD src0_sel:DWORD src1_sel:WORD_1
	v_fma_f16 v11, v89, v16, -v1
	v_mul_f16_sdwa v1, v45, v17 dst_sel:DWORD dst_unused:UNUSED_PAD src0_sel:DWORD src1_sel:WORD_1
	v_mul_f16_sdwa v20, v89, v16 dst_sel:DWORD dst_unused:UNUSED_PAD src0_sel:DWORD src1_sel:WORD_1
	s_waitcnt lgkmcnt(2)
	v_fma_f16 v27, v99, v23, -v2
	v_mul_f16_sdwa v2, v50, v18 dst_sel:DWORD dst_unused:UNUSED_PAD src0_sel:DWORD src1_sel:WORD_1
	v_fmac_f16_e32 v21, v45, v17
	v_fma_f16 v17, v0, v17, -v1
	v_mul_f16_sdwa v0, v51, v19 dst_sel:DWORD dst_unused:UNUSED_PAD src0_sel:DWORD src1_sel:WORD_1
	s_waitcnt vmcnt(0)
	v_mul_f16_sdwa v1, v44, v12 dst_sel:DWORD dst_unused:UNUSED_PAD src0_sel:DWORD src1_sel:WORD_1
	v_mul_f16_sdwa v3, v97, v13 dst_sel:DWORD dst_unused:UNUSED_PAD src0_sel:DWORD src1_sel:WORD_1
	;; [unrolled: 1-line block ×4, first 2 shown]
	v_fmac_f16_e32 v107, v61, v6
	v_fmac_f16_e32 v109, v62, v7
	v_fmac_f16_e32 v114, v57, v10
	v_fmac_f16_e32 v84, v54, v22
	v_fmac_f16_e32 v20, v48, v16
	v_mul_f16_sdwa v22, v95, v18 dst_sel:DWORD dst_unused:UNUSED_PAD src0_sel:DWORD src1_sel:WORD_1
	v_fma_f16 v10, v95, v18, -v2
	v_mul_f16_sdwa v6, v90, v12 dst_sel:DWORD dst_unused:UNUSED_PAD src0_sel:DWORD src1_sel:WORD_1
	s_waitcnt lgkmcnt(1)
	v_fma_f16 v16, v100, v19, -v0
	v_fma_f16 v2, v90, v12, -v1
	v_fmac_f16_e32 v3, v47, v13
	v_fma_f16 v4, v97, v13, -v4
	v_mul_f16_sdwa v7, v96, v14 dst_sel:DWORD dst_unused:UNUSED_PAD src0_sel:DWORD src1_sel:WORD_1
	v_mul_f16_sdwa v0, v43, v14 dst_sel:DWORD dst_unused:UNUSED_PAD src0_sel:DWORD src1_sel:WORD_1
	v_add_f16_e32 v1, v91, v98
	v_add_f16_e32 v13, v85, v102
	v_fmac_f16_e32 v105, v60, v5
	v_fmac_f16_e32 v111, v56, v8
	;; [unrolled: 1-line block ×5, first 2 shown]
	s_waitcnt lgkmcnt(0)
	v_mul_f16_sdwa v9, v101, v15 dst_sel:DWORD dst_unused:UNUSED_PAD src0_sel:DWORD src1_sel:WORD_1
	v_mul_f16_sdwa v8, v46, v15 dst_sel:DWORD dst_unused:UNUSED_PAD src0_sel:DWORD src1_sel:WORD_1
	v_fmac_f16_e32 v7, v43, v14
	v_fma_f16 v5, v96, v14, -v0
	v_fma_f16 v12, -0.5, v1, v42
	v_sub_f16_e32 v1, v85, v91
	v_sub_f16_e32 v14, v102, v98
	v_add_f16_e32 v18, v42, v85
	v_sub_f16_e32 v43, v64, v103
	v_fmac_f16_e32 v42, -0.5, v13
	ds_read_u16 v88, v29
	v_mul_f16_sdwa v86, v99, v23 dst_sel:DWORD dst_unused:UNUSED_PAD src0_sel:DWORD src1_sel:WORD_1
	v_fmac_f16_e32 v9, v46, v15
	v_sub_f16_e32 v0, v93, v63
	v_fma_f16 v8, v101, v15, -v8
	v_add_f16_e32 v1, v1, v14
	v_fmamk_f16 v13, v43, 0x3b9c, v42
	v_sub_f16_e32 v14, v91, v85
	v_sub_f16_e32 v15, v98, v102
	v_fmac_f16_e32 v42, 0xbb9c, v43
	v_fmac_f16_e32 v86, v55, v23
	v_mul_f16_sdwa v23, v100, v19 dst_sel:DWORD dst_unused:UNUSED_PAD src0_sel:DWORD src1_sel:WORD_1
	v_fmac_f16_e32 v13, 0xb8b4, v0
	v_add_f16_e32 v14, v14, v15
	v_fmac_f16_e32 v42, 0x38b4, v0
	v_add_f16_e32 v18, v18, v91
	v_fmac_f16_e32 v23, v51, v19
	v_fmamk_f16 v19, v0, 0xbb9c, v12
	v_fmac_f16_e32 v12, 0x3b9c, v0
	v_fmac_f16_e32 v13, 0x34f2, v14
	;; [unrolled: 1-line block ×3, first 2 shown]
	v_add_f16_e32 v14, v64, v103
	v_fmac_f16_e32 v19, 0xb8b4, v43
	v_fmac_f16_e32 v12, 0x38b4, v43
	v_add_f16_e32 v0, v18, v98
	v_sub_f16_e32 v18, v85, v102
	v_sub_f16_e32 v43, v93, v64
	;; [unrolled: 1-line block ×3, first 2 shown]
	s_waitcnt lgkmcnt(0)
	v_fma_f16 v14, -0.5, v14, v88
	v_add_f16_e32 v45, v93, v63
	v_add_f16_e32 v46, v88, v93
	v_sub_f16_e32 v47, v91, v98
	v_add_f16_e32 v43, v43, v44
	v_fmamk_f16 v90, v18, 0x3b9c, v14
	v_fmac_f16_e32 v88, -0.5, v45
	v_add_f16_e32 v44, v46, v64
	v_fmac_f16_e32 v14, 0xbb9c, v18
	v_sub_f16_e32 v45, v64, v93
	v_sub_f16_e32 v46, v103, v63
	v_fmac_f16_e32 v90, 0x38b4, v47
	v_fmamk_f16 v91, v47, 0xbb9c, v88
	v_fmac_f16_e32 v14, 0xb8b4, v47
	v_fmac_f16_e32 v88, 0x3b9c, v47
	v_add_f16_e32 v44, v44, v103
	v_add_f16_e32 v45, v45, v46
	;; [unrolled: 1-line block ×3, first 2 shown]
	v_fmac_f16_e32 v91, 0x38b4, v18
	v_fmac_f16_e32 v88, 0xb8b4, v18
	v_add_f16_e32 v18, v44, v63
	v_fmac_f16_e32 v90, 0x34f2, v43
	v_fmac_f16_e32 v14, 0x34f2, v43
	v_fma_f16 v43, -0.5, v46, v41
	v_sub_f16_e32 v44, v106, v112
	v_fmac_f16_e32 v91, 0x34f2, v45
	v_fmac_f16_e32 v88, 0x34f2, v45
	v_sub_f16_e32 v45, v104, v105
	v_sub_f16_e32 v46, v109, v107
	v_fmamk_f16 v47, v44, 0xbb9c, v43
	v_sub_f16_e32 v48, v108, v110
	v_fmac_f16_e32 v43, 0x3b9c, v44
	v_add_f16_e32 v49, v104, v109
	v_add_f16_e32 v45, v45, v46
	;; [unrolled: 1-line block ×3, first 2 shown]
	v_fmac_f16_e32 v47, 0xb8b4, v48
	v_fmac_f16_e32 v43, 0x38b4, v48
	v_fmac_f16_e32 v41, -0.5, v49
	v_sub_f16_e32 v49, v105, v104
	v_sub_f16_e32 v50, v107, v109
	v_fmac_f16_e32 v47, 0x34f2, v45
	v_fmac_f16_e32 v43, 0x34f2, v45
	v_fmamk_f16 v45, v48, 0x3b9c, v41
	v_fmac_f16_e32 v41, 0xbb9c, v48
	v_add_f16_e32 v48, v49, v50
	v_sub_f16_e32 v49, v111, v113
	v_add_f16_e32 v50, v113, v114
	v_sub_f16_e32 v51, v115, v114
	v_fmac_f16_e32 v45, 0xb8b4, v44
	v_fmac_f16_e32 v41, 0x38b4, v44
	v_add_f16_e32 v44, v111, v115
	v_fma_f16 v50, -0.5, v50, v40
	v_sub_f16_e32 v52, v87, v92
	v_add_f16_e32 v49, v49, v51
	v_add_f16_e32 v51, v40, v111
	v_fmac_f16_e32 v40, -0.5, v44
	v_sub_f16_e32 v44, v116, v117
	v_fmamk_f16 v53, v52, 0xbb9c, v50
	v_fmac_f16_e32 v50, 0x3b9c, v52
	v_sub_f16_e32 v54, v113, v111
	v_sub_f16_e32 v55, v114, v115
	v_fmamk_f16 v56, v44, 0x3b9c, v40
	v_fmac_f16_e32 v40, 0xbb9c, v44
	v_fmac_f16_e32 v53, 0xb8b4, v44
	;; [unrolled: 1-line block ×3, first 2 shown]
	v_add_f16_e32 v44, v54, v55
	v_fmac_f16_e32 v56, 0xb8b4, v52
	v_fmac_f16_e32 v40, 0x38b4, v52
	v_add_f16_e32 v52, v82, v84
	v_fmac_f16_e32 v45, 0x34f2, v48
	v_fmac_f16_e32 v41, 0x34f2, v48
	;; [unrolled: 1-line block ×5, first 2 shown]
	v_fma_f16 v48, -0.5, v52, v38
	v_sub_f16_e32 v49, v79, v27
	v_fmac_f16_e32 v40, 0x34f2, v44
	v_sub_f16_e32 v44, v83, v82
	v_sub_f16_e32 v52, v86, v84
	v_add_f16_e32 v54, v83, v86
	v_fmamk_f16 v55, v49, 0xbb9c, v48
	v_sub_f16_e32 v57, v81, v78
	v_fmac_f16_e32 v48, 0x3b9c, v49
	v_add_f16_e32 v44, v44, v52
	v_add_f16_e32 v52, v38, v83
	v_fmac_f16_e32 v38, -0.5, v54
	v_fmac_f16_e32 v55, 0xb8b4, v57
	v_fmac_f16_e32 v48, 0x38b4, v57
	v_sub_f16_e32 v54, v82, v83
	v_sub_f16_e32 v58, v84, v86
	v_fmamk_f16 v59, v57, 0x3b9c, v38
	v_fmac_f16_e32 v38, 0xbb9c, v57
	v_fmac_f16_e32 v55, 0x34f2, v44
	;; [unrolled: 1-line block ×3, first 2 shown]
	v_add_f16_e32 v44, v54, v58
	v_fmac_f16_e32 v59, 0xb8b4, v49
	v_add_f16_e32 v54, v21, v22
	v_sub_f16_e32 v57, v20, v21
	v_sub_f16_e32 v58, v23, v22
	v_fmac_f16_e32 v38, 0x38b4, v49
	v_add_f16_e32 v49, v20, v23
	v_fma_f16 v54, -0.5, v54, v37
	v_sub_f16_e32 v60, v11, v16
	v_add_f16_e32 v57, v57, v58
	v_add_f16_e32 v58, v37, v20
	v_fmac_f16_e32 v37, -0.5, v49
	v_sub_f16_e32 v49, v17, v10
	v_fmamk_f16 v61, v60, 0xbb9c, v54
	v_fmac_f16_e32 v54, 0x3b9c, v60
	v_sub_f16_e32 v62, v21, v20
	v_sub_f16_e32 v63, v22, v23
	v_fmamk_f16 v64, v49, 0x3b9c, v37
	v_fmac_f16_e32 v37, 0xbb9c, v49
	v_fmac_f16_e32 v61, 0xb8b4, v49
	;; [unrolled: 1-line block ×3, first 2 shown]
	v_add_f16_e32 v49, v62, v63
	v_fmac_f16_e32 v64, 0xb8b4, v60
	v_fmac_f16_e32 v37, 0x38b4, v60
	v_add_f16_e32 v60, v3, v7
	v_fmac_f16_e32 v59, 0x34f2, v44
	v_fmac_f16_e32 v38, 0x34f2, v44
	;; [unrolled: 1-line block ×3, first 2 shown]
	v_sub_f16_e32 v62, v9, v7
	v_fma_f16 v44, -0.5, v60, v39
	v_sub_f16_e32 v60, v6, v3
	v_fmac_f16_e32 v37, 0x34f2, v49
	v_add_f16_e32 v49, v6, v9
	v_fmac_f16_e32 v61, 0x34f2, v57
	v_fmac_f16_e32 v54, 0x34f2, v57
	v_sub_f16_e32 v57, v2, v8
	v_sub_f16_e32 v65, v4, v5
	v_add_f16_e32 v60, v60, v62
	v_add_f16_e32 v62, v39, v6
	v_fmac_f16_e32 v39, -0.5, v49
	v_fmamk_f16 v63, v57, 0xbb9c, v44
	v_fmac_f16_e32 v44, 0x3b9c, v57
	v_sub_f16_e32 v49, v3, v6
	v_sub_f16_e32 v66, v7, v9
	v_mov_b32_e32 v93, 0x96
	v_fmamk_f16 v94, v65, 0x3b9c, v39
	v_fmac_f16_e32 v39, 0xbb9c, v65
	v_fmac_f16_e32 v63, 0xb8b4, v65
	;; [unrolled: 1-line block ×3, first 2 shown]
	v_add_f16_e32 v49, v49, v66
	v_mul_u32_u24_sdwa v28, v28, v93 dst_sel:DWORD dst_unused:UNUSED_PAD src0_sel:WORD_0 src1_sel:DWORD
	v_lshlrev_b32_sdwa v65, v35, v67 dst_sel:DWORD dst_unused:UNUSED_PAD src0_sel:DWORD src1_sel:BYTE_0
	v_fmac_f16_e32 v94, 0xb8b4, v57
	v_fmac_f16_e32 v39, 0x38b4, v57
	v_add_f16_e32 v46, v46, v105
	v_add_f16_e32 v15, v0, v102
	v_add3_u32 v28, 0, v28, v65
	v_fmac_f16_e32 v94, 0x34f2, v49
	v_fmac_f16_e32 v39, 0x34f2, v49
	v_mul_u32_u24_sdwa v49, v68, v93 dst_sel:DWORD dst_unused:UNUSED_PAD src0_sel:WORD_0 src1_sel:DWORD
	v_lshlrev_b32_sdwa v57, v35, v70 dst_sel:DWORD dst_unused:UNUSED_PAD src0_sel:DWORD src1_sel:BYTE_0
	v_add_f16_e32 v46, v46, v107
	v_fmac_f16_e32 v19, 0x34f2, v1
	v_fmac_f16_e32 v12, 0x34f2, v1
	ds_read_u16 v85, v29 offset:250
	ds_read_u16 v89, v29 offset:500
	;; [unrolled: 1-line block ×4, first 2 shown]
	s_waitcnt lgkmcnt(0)
	s_barrier
	buffer_gl0_inv
	ds_write_b16 v28, v15
	ds_write_b16 v28, v19 offset:30
	v_add3_u32 v15, 0, v49, v57
	v_add_f16_e32 v19, v46, v109
	ds_write_b16 v28, v13 offset:60
	ds_write_b16 v28, v42 offset:90
	;; [unrolled: 1-line block ×3, first 2 shown]
	v_add_f16_e32 v12, v51, v113
	ds_write_b16 v15, v19
	ds_write_b16 v15, v47 offset:30
	v_mul_u32_u24_e32 v13, 0x96, v69
	v_lshlrev_b32_sdwa v19, v35, v72 dst_sel:DWORD dst_unused:UNUSED_PAD src0_sel:DWORD src1_sel:WORD_0
	ds_write_b16 v15, v45 offset:60
	ds_write_b16 v15, v41 offset:90
	v_add_f16_e32 v41, v52, v82
	v_add_f16_e32 v12, v12, v114
	v_lshlrev_b32_sdwa v42, v35, v73 dst_sel:DWORD dst_unused:UNUSED_PAD src0_sel:DWORD src1_sel:WORD_0
	v_add3_u32 v13, 0, v13, v19
	v_mul_u32_u24_e32 v19, 0x96, v71
	v_add_f16_e32 v41, v41, v84
	v_add_f16_e32 v12, v12, v115
	ds_write_b16 v15, v43 offset:120
	ds_write_b16 v13, v12
	ds_write_b16 v13, v53 offset:30
	v_add3_u32 v12, 0, v19, v42
	v_add_f16_e32 v19, v41, v86
	ds_write_b16 v13, v56 offset:60
	ds_write_b16 v13, v40 offset:90
	v_add_f16_e32 v40, v58, v21
	ds_write_b16 v13, v50 offset:120
	ds_write_b16 v12, v19
	v_mul_u32_u24_e32 v19, 0x96, v76
	v_lshlrev_b32_sdwa v41, v35, v77 dst_sel:DWORD dst_unused:UNUSED_PAD src0_sel:DWORD src1_sel:WORD_0
	v_add_f16_e32 v42, v62, v3
	v_add_f16_e32 v40, v40, v22
	v_lshlrev_b32_sdwa v43, v35, v75 dst_sel:DWORD dst_unused:UNUSED_PAD src0_sel:DWORD src1_sel:WORD_0
	v_fmac_f16_e32 v63, 0x34f2, v60
	v_add3_u32 v19, 0, v19, v41
	v_mul_u32_u24_e32 v41, 0x96, v74
	v_add_f16_e32 v42, v42, v7
	v_add_f16_e32 v40, v40, v23
	v_fmac_f16_e32 v44, 0x34f2, v60
	ds_write_b16 v12, v55 offset:30
	ds_write_b16 v12, v59 offset:60
	;; [unrolled: 1-line block ×4, first 2 shown]
	ds_write_b16 v19, v40
	v_add3_u32 v68, 0, v41, v43
	v_add_f16_e32 v38, v42, v9
	ds_write_b16 v19, v61 offset:30
	ds_write_b16 v19, v64 offset:60
	;; [unrolled: 1-line block ×4, first 2 shown]
	ds_write_b16 v68, v38
	ds_write_b16 v68, v63 offset:30
	ds_write_b16 v68, v94 offset:60
	;; [unrolled: 1-line block ×4, first 2 shown]
	s_waitcnt lgkmcnt(0)
	s_barrier
	buffer_gl0_inv
	ds_read_u16 v39, v29
	ds_read_u16 v38, v29 offset:250
	ds_read_u16 v51, v29 offset:4000
	;; [unrolled: 1-line block ×29, first 2 shown]
	s_waitcnt lgkmcnt(0)
	s_barrier
	buffer_gl0_inv
	ds_write_b16 v28, v18
	ds_write_b16 v28, v90 offset:30
	ds_write_b16 v28, v91 offset:60
	ds_write_b16 v28, v88 offset:90
	v_add_f16_e32 v18, v108, v110
	v_add_f16_e32 v40, v106, v112
	;; [unrolled: 1-line block ×3, first 2 shown]
	ds_write_b16 v28, v14 offset:120
	v_sub_f16_e32 v70, v104, v109
	v_fma_f16 v18, -0.5, v18, v85
	v_fmac_f16_e32 v85, -0.5, v40
	v_add_f16_e32 v28, v69, v108
	v_sub_f16_e32 v40, v106, v108
	v_sub_f16_e32 v69, v112, v110
	;; [unrolled: 1-line block ×5, first 2 shown]
	v_add_f16_e32 v28, v28, v110
	v_add_f16_e32 v40, v40, v69
	v_fmamk_f16 v69, v70, 0x3b9c, v18
	v_fmamk_f16 v73, v14, 0xbb9c, v85
	v_fmac_f16_e32 v85, 0x3b9c, v14
	v_fmac_f16_e32 v18, 0xbb9c, v70
	v_add_f16_e32 v71, v71, v72
	v_fmac_f16_e32 v69, 0x38b4, v14
	v_fmac_f16_e32 v73, 0x38b4, v70
	;; [unrolled: 1-line block ×4, first 2 shown]
	v_add_f16_e32 v14, v28, v112
	v_fmac_f16_e32 v69, 0x34f2, v40
	v_fmac_f16_e32 v73, 0x34f2, v71
	;; [unrolled: 1-line block ×4, first 2 shown]
	ds_write_b16 v15, v14
	ds_write_b16 v15, v69 offset:30
	ds_write_b16 v15, v73 offset:60
	;; [unrolled: 1-line block ×3, first 2 shown]
	v_add_f16_e32 v14, v116, v117
	v_add_f16_e32 v28, v87, v92
	;; [unrolled: 1-line block ×3, first 2 shown]
	ds_write_b16 v15, v18 offset:120
	v_sub_f16_e32 v69, v111, v115
	v_fma_f16 v14, -0.5, v14, v89
	v_fmac_f16_e32 v89, -0.5, v28
	v_add_f16_e32 v18, v40, v116
	v_sub_f16_e32 v28, v87, v116
	v_sub_f16_e32 v40, v92, v117
	;; [unrolled: 1-line block ×5, first 2 shown]
	v_add_f16_e32 v18, v18, v117
	v_add_f16_e32 v28, v28, v40
	v_fmamk_f16 v40, v69, 0x3b9c, v14
	v_fmamk_f16 v72, v15, 0xbb9c, v89
	v_fmac_f16_e32 v89, 0x3b9c, v15
	v_fmac_f16_e32 v14, 0xbb9c, v69
	v_add_f16_e32 v70, v70, v71
	v_fmac_f16_e32 v40, 0x38b4, v15
	v_fmac_f16_e32 v72, 0x38b4, v69
	;; [unrolled: 1-line block ×4, first 2 shown]
	v_add_f16_e32 v15, v18, v92
	v_fmac_f16_e32 v40, 0x34f2, v28
	v_fmac_f16_e32 v72, 0x34f2, v70
	;; [unrolled: 1-line block ×4, first 2 shown]
	ds_write_b16 v13, v15
	ds_write_b16 v13, v40 offset:30
	ds_write_b16 v13, v72 offset:60
	;; [unrolled: 1-line block ×3, first 2 shown]
	v_add_f16_e32 v15, v81, v78
	v_add_f16_e32 v28, v79, v27
	v_sub_f16_e32 v18, v27, v78
	ds_write_b16 v13, v14 offset:120
	v_sub_f16_e32 v13, v83, v86
	v_sub_f16_e32 v14, v79, v81
	v_fma_f16 v15, -0.5, v15, v1
	v_add_f16_e32 v40, v1, v79
	v_sub_f16_e32 v69, v82, v84
	v_fmac_f16_e32 v1, -0.5, v28
	v_add_f16_e32 v14, v14, v18
	v_fmamk_f16 v18, v13, 0x3b9c, v15
	v_add_f16_e32 v28, v40, v81
	v_sub_f16_e32 v40, v81, v79
	v_fmac_f16_e32 v15, 0xbb9c, v13
	v_sub_f16_e32 v70, v78, v27
	v_fmamk_f16 v71, v69, 0xbb9c, v1
	v_fmac_f16_e32 v1, 0x3b9c, v69
	v_fmac_f16_e32 v18, 0x38b4, v69
	v_add_f16_e32 v28, v28, v78
	v_fmac_f16_e32 v15, 0xb8b4, v69
	v_add_f16_e32 v40, v40, v70
	v_fmac_f16_e32 v71, 0x38b4, v13
	v_fmac_f16_e32 v1, 0xb8b4, v13
	v_add_f16_e32 v13, v28, v27
	v_fmac_f16_e32 v18, 0x34f2, v14
	v_fmac_f16_e32 v15, 0x34f2, v14
	;; [unrolled: 1-line block ×3, first 2 shown]
	v_add_f16_e32 v14, v17, v10
	v_fmac_f16_e32 v1, 0x34f2, v40
	v_sub_f16_e32 v20, v20, v23
	v_sub_f16_e32 v23, v11, v17
	;; [unrolled: 1-line block ×3, first 2 shown]
	v_add_f16_e32 v28, v11, v16
	v_add_f16_e32 v40, v0, v11
	v_fma_f16 v14, -0.5, v14, v0
	v_sub_f16_e32 v21, v21, v22
	v_add_f16_e32 v22, v23, v27
	v_fmac_f16_e32 v0, -0.5, v28
	v_add_f16_e32 v27, v40, v17
	v_sub_f16_e32 v11, v17, v11
	v_sub_f16_e32 v17, v10, v16
	v_fmamk_f16 v23, v20, 0x3b9c, v14
	v_fmamk_f16 v69, v21, 0xbb9c, v0
	v_fmac_f16_e32 v0, 0x3b9c, v21
	v_add_f16_e32 v10, v27, v10
	v_add_f16_e32 v11, v11, v17
	v_fmac_f16_e32 v14, 0xbb9c, v20
	v_fmac_f16_e32 v69, 0x38b4, v20
	;; [unrolled: 1-line block ×3, first 2 shown]
	v_add_f16_e32 v10, v10, v16
	v_add_f16_e32 v16, v80, v2
	v_sub_f16_e32 v6, v6, v9
	v_fmac_f16_e32 v69, 0x34f2, v11
	v_fmac_f16_e32 v0, 0x34f2, v11
	v_add_f16_e32 v20, v2, v8
	v_add_f16_e32 v11, v16, v4
	;; [unrolled: 1-line block ×3, first 2 shown]
	v_sub_f16_e32 v3, v3, v7
	v_sub_f16_e32 v9, v2, v4
	;; [unrolled: 1-line block ×3, first 2 shown]
	v_add_f16_e32 v7, v11, v5
	v_fma_f16 v11, -0.5, v16, v80
	v_fmac_f16_e32 v80, -0.5, v20
	v_sub_f16_e32 v17, v8, v5
	v_sub_f16_e32 v5, v5, v8
	v_add_f16_e32 v4, v7, v8
	v_fmamk_f16 v7, v6, 0x3b9c, v11
	v_fmac_f16_e32 v11, 0xbb9c, v6
	v_fmamk_f16 v8, v3, 0xbb9c, v80
	v_fmac_f16_e32 v80, 0x3b9c, v3
	v_fmac_f16_e32 v23, 0x38b4, v21
	;; [unrolled: 1-line block ×4, first 2 shown]
	v_add_nc_u32_e32 v3, 0xffffffb5, v26
	v_fmac_f16_e32 v14, 0xb8b4, v21
	v_fmac_f16_e32 v23, 0x34f2, v22
	v_mov_b32_e32 v28, 0
	v_add_f16_e32 v9, v9, v17
	v_cndmask_b32_e64 v40, v3, v26, s0
	v_fmac_f16_e32 v14, 0x34f2, v22
	v_add_f16_e32 v2, v2, v5
	v_fmac_f16_e32 v8, 0x38b4, v6
	v_fmac_f16_e32 v80, 0xb8b4, v6
	v_mul_i32_i24_e32 v27, 9, v40
	ds_write_b16 v12, v13
	ds_write_b16 v12, v18 offset:30
	ds_write_b16 v12, v71 offset:60
	ds_write_b16 v12, v1 offset:90
	ds_write_b16 v12, v15 offset:120
	ds_write_b16 v19, v10
	ds_write_b16 v19, v23 offset:30
	ds_write_b16 v19, v69 offset:60
	;; [unrolled: 1-line block ×4, first 2 shown]
	v_fmac_f16_e32 v7, 0x34f2, v9
	v_lshlrev_b64 v[0:1], 2, v[27:28]
	v_fmac_f16_e32 v8, 0x34f2, v2
	v_fmac_f16_e32 v80, 0x34f2, v2
	ds_write_b16 v68, v4
	ds_write_b16 v68, v7 offset:30
	ds_write_b16 v68, v8 offset:60
	;; [unrolled: 1-line block ×3, first 2 shown]
	v_mul_lo_u16 v4, 0xdb, v36
	v_add_co_u32 v70, s0, s8, v0
	v_fmac_f16_e32 v11, 0x34f2, v9
	v_add_co_ci_u32_e64 v71, s0, s9, v1, s0
	v_lshrrev_b16 v27, 14, v4
	v_mov_b32_e32 v8, 0xb4e9
	ds_write_b16 v68, v11 offset:120
	s_waitcnt lgkmcnt(0)
	s_barrier
	buffer_gl0_inv
	s_clause 0x1
	global_load_dwordx4 v[0:3], v[70:71], off offset:288
	global_load_dwordx4 v[4:7], v[70:71], off offset:304
	v_mul_lo_u16 v9, 0x4b, v27
	v_mul_u32_u24_sdwa v8, v33, v8 dst_sel:DWORD dst_unused:UNUSED_PAD src0_sel:WORD_0 src1_sel:DWORD
	v_cmp_lt_u32_e64 s0, 0x4a, v26
	v_lshlrev_b32_e32 v40, 1, v40
	v_sub_nc_u16 v69, v32, v9
	v_mov_b32_e32 v9, 9
	v_lshrrev_b32_e32 v8, 16, v8
	v_mul_u32_u24_sdwa v10, v69, v9 dst_sel:DWORD dst_unused:UNUSED_PAD src0_sel:BYTE_0 src1_sel:DWORD
	v_sub_nc_u16 v11, v33, v8
	v_lshlrev_b32_e32 v72, 2, v10
	v_lshrrev_b16 v10, 1, v11
	s_clause 0x1
	global_load_dwordx4 v[20:23], v72, s[8:9] offset:288
	global_load_dwordx4 v[16:19], v72, s[8:9] offset:304
	v_add_nc_u16 v8, v10, v8
	v_lshrrev_b16 v36, 6, v8
	v_mul_lo_u16 v8, 0x4b, v36
	v_sub_nc_u16 v68, v33, v8
	v_mul_u32_u24_sdwa v8, v68, v9 dst_sel:DWORD dst_unused:UNUSED_PAD src0_sel:WORD_0 src1_sel:DWORD
	v_lshlrev_b32_e32 v73, 2, v8
	s_clause 0x4
	global_load_dwordx4 v[8:11], v73, s[8:9] offset:288
	global_load_dwordx4 v[12:15], v73, s[8:9] offset:304
	global_load_dword v71, v[70:71], off offset:320
	global_load_dword v70, v72, s[8:9] offset:320
	global_load_dword v72, v73, s[8:9] offset:320
	ds_read_u16 v79, v29 offset:750
	ds_read_u16 v78, v29 offset:1500
	;; [unrolled: 1-line block ×9, first 2 shown]
	s_waitcnt vmcnt(8) lgkmcnt(8)
	v_mul_f16_sdwa v81, v79, v0 dst_sel:DWORD dst_unused:UNUSED_PAD src0_sel:DWORD src1_sel:WORD_1
	v_mul_f16_sdwa v82, v67, v0 dst_sel:DWORD dst_unused:UNUSED_PAD src0_sel:DWORD src1_sel:WORD_1
	s_waitcnt lgkmcnt(7)
	v_mul_f16_sdwa v84, v78, v1 dst_sel:DWORD dst_unused:UNUSED_PAD src0_sel:DWORD src1_sel:WORD_1
	v_mul_f16_sdwa v85, v65, v1 dst_sel:DWORD dst_unused:UNUSED_PAD src0_sel:DWORD src1_sel:WORD_1
	s_waitcnt lgkmcnt(6)
	v_mul_f16_sdwa v89, v77, v2 dst_sel:DWORD dst_unused:UNUSED_PAD src0_sel:DWORD src1_sel:WORD_1
	v_fmac_f16_e32 v81, v67, v0
	ds_read_u16 v67, v29 offset:4500
	v_fma_f16 v79, v79, v0, -v82
	ds_read_u16 v0, v29 offset:5250
	v_fmac_f16_e32 v84, v65, v1
	ds_read_u16 v65, v29 offset:2500
	ds_read_u16 v82, v29 offset:3250
	;; [unrolled: 1-line block ×6, first 2 shown]
	v_fma_f16 v78, v78, v1, -v85
	v_mul_f16_sdwa v1, v66, v2 dst_sel:DWORD dst_unused:UNUSED_PAD src0_sel:DWORD src1_sel:WORD_1
	s_waitcnt lgkmcnt(13)
	v_mul_f16_sdwa v85, v76, v3 dst_sel:DWORD dst_unused:UNUSED_PAD src0_sel:DWORD src1_sel:WORD_1
	v_mul_f16_sdwa v90, v64, v3 dst_sel:DWORD dst_unused:UNUSED_PAD src0_sel:DWORD src1_sel:WORD_1
	v_fmac_f16_e32 v89, v66, v2
	v_fma_f16 v77, v77, v2, -v1
	s_waitcnt vmcnt(7)
	v_mul_f16_sdwa v1, v61, v4 dst_sel:DWORD dst_unused:UNUSED_PAD src0_sel:DWORD src1_sel:WORD_1
	v_fmac_f16_e32 v85, v64, v3
	v_fma_f16 v76, v76, v3, -v90
	s_waitcnt lgkmcnt(8)
	v_mul_f16_sdwa v90, v83, v4 dst_sel:DWORD dst_unused:UNUSED_PAD src0_sel:DWORD src1_sel:WORD_1
	ds_read_u16 v3, v29 offset:4750
	ds_read_u16 v64, v29 offset:4000
	;; [unrolled: 1-line block ×6, first 2 shown]
	v_mul_f16_sdwa v2, v63, v5 dst_sel:DWORD dst_unused:UNUSED_PAD src0_sel:DWORD src1_sel:WORD_1
	v_fma_f16 v83, v83, v4, -v1
	s_waitcnt lgkmcnt(13)
	v_mul_f16_sdwa v95, v67, v5 dst_sel:DWORD dst_unused:UNUSED_PAD src0_sel:DWORD src1_sel:WORD_1
	v_mul_f16_sdwa v1, v62, v6 dst_sel:DWORD dst_unused:UNUSED_PAD src0_sel:DWORD src1_sel:WORD_1
	s_waitcnt lgkmcnt(12)
	v_mul_f16_sdwa v96, v0, v6 dst_sel:DWORD dst_unused:UNUSED_PAD src0_sel:DWORD src1_sel:WORD_1
	v_fma_f16 v97, v67, v5, -v2
	s_waitcnt vmcnt(6)
	v_mul_f16_sdwa v2, v73, v20 dst_sel:DWORD dst_unused:UNUSED_PAD src0_sel:DWORD src1_sel:WORD_1
	v_fmac_f16_e32 v95, v63, v5
	s_waitcnt lgkmcnt(6)
	v_mul_f16_sdwa v101, v91, v7 dst_sel:DWORD dst_unused:UNUSED_PAD src0_sel:DWORD src1_sel:WORD_1
	v_mul_f16_sdwa v5, v57, v7 dst_sel:DWORD dst_unused:UNUSED_PAD src0_sel:DWORD src1_sel:WORD_1
	v_fma_f16 v102, v0, v6, -v1
	v_mul_f16_sdwa v0, v58, v20 dst_sel:DWORD dst_unused:UNUSED_PAD src0_sel:DWORD src1_sel:WORD_1
	v_mul_f16_sdwa v1, v54, v21 dst_sel:DWORD dst_unused:UNUSED_PAD src0_sel:DWORD src1_sel:WORD_1
	v_fmac_f16_e32 v90, v61, v4
	ds_read_u16 v4, v29 offset:6250
	ds_read_u16 v67, v29 offset:6500
	;; [unrolled: 1-line block ×5, first 2 shown]
	v_fmac_f16_e32 v101, v57, v7
	v_fma_f16 v91, v91, v7, -v5
	v_mul_f16_sdwa v61, v75, v21 dst_sel:DWORD dst_unused:UNUSED_PAD src0_sel:DWORD src1_sel:WORD_1
	v_fmac_f16_e32 v2, v58, v20
	v_fma_f16 v7, v73, v20, -v0
	v_mul_f16_sdwa v20, v65, v22 dst_sel:DWORD dst_unused:UNUSED_PAD src0_sel:DWORD src1_sel:WORD_1
	v_mul_f16_sdwa v0, v60, v22 dst_sel:DWORD dst_unused:UNUSED_PAD src0_sel:DWORD src1_sel:WORD_1
	v_fma_f16 v57, v75, v21, -v1
	v_mul_f16_sdwa v1, v56, v23 dst_sel:DWORD dst_unused:UNUSED_PAD src0_sel:DWORD src1_sel:WORD_1
	v_fmac_f16_e32 v96, v62, v6
	v_fmac_f16_e32 v61, v54, v21
	v_mul_f16_sdwa v62, v82, v23 dst_sel:DWORD dst_unused:UNUSED_PAD src0_sel:DWORD src1_sel:WORD_1
	v_fmac_f16_e32 v20, v60, v22
	v_fma_f16 v21, v65, v22, -v0
	s_waitcnt vmcnt(5)
	v_mul_f16_sdwa v0, v51, v16 dst_sel:DWORD dst_unused:UNUSED_PAD src0_sel:DWORD src1_sel:WORD_1
	v_fma_f16 v60, v82, v23, -v1
	s_waitcnt lgkmcnt(10)
	v_mul_f16_sdwa v63, v3, v17 dst_sel:DWORD dst_unused:UNUSED_PAD src0_sel:DWORD src1_sel:WORD_1
	v_mul_f16_sdwa v1, v59, v17 dst_sel:DWORD dst_unused:UNUSED_PAD src0_sel:DWORD src1_sel:WORD_1
	v_fmac_f16_e32 v62, v56, v23
	s_waitcnt lgkmcnt(9)
	v_fma_f16 v56, v64, v16, -v0
	v_mul_f16_sdwa v0, v55, v18 dst_sel:DWORD dst_unused:UNUSED_PAD src0_sel:DWORD src1_sel:WORD_1
	v_fmac_f16_e32 v63, v59, v17
	v_fma_f16 v59, v3, v17, -v1
	v_mul_f16_sdwa v1, v48, v19 dst_sel:DWORD dst_unused:UNUSED_PAD src0_sel:DWORD src1_sel:WORD_1
	v_mul_f16_sdwa v22, v64, v16 dst_sel:DWORD dst_unused:UNUSED_PAD src0_sel:DWORD src1_sel:WORD_1
	s_waitcnt lgkmcnt(4)
	v_mul_f16_sdwa v65, v4, v19 dst_sel:DWORD dst_unused:UNUSED_PAD src0_sel:DWORD src1_sel:WORD_1
	v_fma_f16 v58, v66, v18, -v0
	s_waitcnt vmcnt(4)
	v_mul_f16_sdwa v0, v74, v8 dst_sel:DWORD dst_unused:UNUSED_PAD src0_sel:DWORD src1_sel:WORD_1
	v_mul_f16_sdwa v3, v47, v8 dst_sel:DWORD dst_unused:UNUSED_PAD src0_sel:DWORD src1_sel:WORD_1
	v_fma_f16 v64, v4, v19, -v1
	v_mul_f16_sdwa v6, v88, v9 dst_sel:DWORD dst_unused:UNUSED_PAD src0_sel:DWORD src1_sel:WORD_1
	v_mul_f16_sdwa v4, v53, v9 dst_sel:DWORD dst_unused:UNUSED_PAD src0_sel:DWORD src1_sel:WORD_1
	v_fmac_f16_e32 v22, v51, v16
	v_fmac_f16_e32 v0, v47, v8
	v_fma_f16 v1, v74, v8, -v3
	v_mul_f16_sdwa v8, v87, v10 dst_sel:DWORD dst_unused:UNUSED_PAD src0_sel:DWORD src1_sel:WORD_1
	v_fmac_f16_e32 v6, v53, v9
	v_fma_f16 v3, v88, v9, -v4
	v_mul_f16_sdwa v4, v49, v10 dst_sel:DWORD dst_unused:UNUSED_PAD src0_sel:DWORD src1_sel:WORD_1
	v_mul_f16_sdwa v51, v86, v11 dst_sel:DWORD dst_unused:UNUSED_PAD src0_sel:DWORD src1_sel:WORD_1
	;; [unrolled: 1-line block ×3, first 2 shown]
	s_waitcnt vmcnt(3)
	v_mul_f16_sdwa v9, v94, v12 dst_sel:DWORD dst_unused:UNUSED_PAD src0_sel:DWORD src1_sel:WORD_1
	v_mul_f16_sdwa v17, v52, v12 dst_sel:DWORD dst_unused:UNUSED_PAD src0_sel:DWORD src1_sel:WORD_1
	;; [unrolled: 1-line block ×3, first 2 shown]
	v_fmac_f16_e32 v8, v49, v10
	v_fma_f16 v10, v87, v10, -v4
	v_fmac_f16_e32 v51, v44, v11
	v_fma_f16 v49, v86, v11, -v5
	;; [unrolled: 2-line block ×3, first 2 shown]
	v_mul_f16_sdwa v5, v46, v13 dst_sel:DWORD dst_unused:UNUSED_PAD src0_sel:DWORD src1_sel:WORD_1
	v_mul_f16_sdwa v11, v92, v14 dst_sel:DWORD dst_unused:UNUSED_PAD src0_sel:DWORD src1_sel:WORD_1
	;; [unrolled: 1-line block ×3, first 2 shown]
	v_fmac_f16_e32 v16, v55, v18
	s_waitcnt vmcnt(1)
	v_mul_f16_sdwa v18, v42, v70 dst_sel:DWORD dst_unused:UNUSED_PAD src0_sel:DWORD src1_sel:WORD_1
	v_fma_f16 v52, v93, v13, -v5
	v_fmac_f16_e32 v11, v43, v14
	v_fma_f16 v5, v92, v14, -v12
	v_mul_f16_sdwa v12, v50, v15 dst_sel:DWORD dst_unused:UNUSED_PAD src0_sel:DWORD src1_sel:WORD_1
	v_mul_f16_sdwa v14, v45, v71 dst_sel:DWORD dst_unused:UNUSED_PAD src0_sel:DWORD src1_sel:WORD_1
	v_fmac_f16_e32 v65, v48, v19
	s_waitcnt lgkmcnt(3)
	v_mul_f16_sdwa v55, v67, v15 dst_sel:DWORD dst_unused:UNUSED_PAD src0_sel:DWORD src1_sel:WORD_1
	s_waitcnt lgkmcnt(1)
	v_mul_f16_sdwa v17, v99, v70 dst_sel:DWORD dst_unused:UNUSED_PAD src0_sel:DWORD src1_sel:WORD_1
	v_fma_f16 v54, v67, v15, -v12
	s_waitcnt lgkmcnt(0)
	v_fma_f16 v12, v100, v71, -v14
	v_fma_f16 v66, v99, v70, -v18
	v_add_f16_e32 v14, v85, v95
	s_waitcnt vmcnt(0)
	v_mul_f16_sdwa v18, v41, v72 dst_sel:DWORD dst_unused:UNUSED_PAD src0_sel:DWORD src1_sel:WORD_1
	v_sub_f16_e32 v19, v84, v85
	v_sub_f16_e32 v23, v101, v95
	v_fmac_f16_e32 v55, v50, v15
	v_fmac_f16_e32 v17, v42, v70
	v_mul_f16_sdwa v15, v98, v72 dst_sel:DWORD dst_unused:UNUSED_PAD src0_sel:DWORD src1_sel:WORD_1
	v_fma_f16 v14, -0.5, v14, v39
	v_sub_f16_e32 v42, v78, v91
	v_fma_f16 v50, v98, v72, -v18
	v_add_f16_e32 v18, v19, v23
	v_add_f16_e32 v19, v84, v101
	ds_read_u16 v43, v29
	ds_read_u16 v67, v29 offset:250
	v_add_f16_e32 v44, v39, v84
	v_mul_f16_sdwa v53, v93, v13 dst_sel:DWORD dst_unused:UNUSED_PAD src0_sel:DWORD src1_sel:WORD_1
	v_fmac_f16_e32 v15, v41, v72
	v_fmamk_f16 v23, v42, 0xbb9c, v14
	v_sub_f16_e32 v41, v76, v97
	v_fmac_f16_e32 v39, -0.5, v19
	v_fmac_f16_e32 v14, 0x3b9c, v42
	v_add_f16_e32 v44, v44, v85
	v_fmac_f16_e32 v53, v46, v13
	v_mul_f16_sdwa v13, v100, v71 dst_sel:DWORD dst_unused:UNUSED_PAD src0_sel:DWORD src1_sel:WORD_1
	v_fmac_f16_e32 v23, 0xb8b4, v41
	v_fmamk_f16 v46, v41, 0x3b9c, v39
	v_fmac_f16_e32 v39, 0xbb9c, v41
	v_fmac_f16_e32 v14, 0x38b4, v41
	v_add_f16_e32 v41, v44, v95
	v_fmac_f16_e32 v13, v45, v71
	v_sub_f16_e32 v19, v85, v84
	v_sub_f16_e32 v45, v95, v101
	v_fmac_f16_e32 v23, 0x34f2, v18
	v_fmac_f16_e32 v14, 0x34f2, v18
	v_add_f16_e32 v18, v41, v101
	v_add_f16_e32 v41, v76, v97
	;; [unrolled: 1-line block ×3, first 2 shown]
	v_fmac_f16_e32 v46, 0xb8b4, v42
	v_fmac_f16_e32 v39, 0x38b4, v42
	v_sub_f16_e32 v42, v84, v101
	v_sub_f16_e32 v44, v78, v76
	;; [unrolled: 1-line block ×3, first 2 shown]
	s_waitcnt lgkmcnt(1)
	v_fma_f16 v41, -0.5, v41, v43
	v_add_f16_e32 v48, v78, v91
	v_fmac_f16_e32 v46, 0x34f2, v19
	v_fmac_f16_e32 v39, 0x34f2, v19
	v_add_f16_e32 v19, v43, v78
	v_sub_f16_e32 v47, v85, v95
	v_add_f16_e32 v44, v44, v45
	v_fmamk_f16 v45, v42, 0x3b9c, v41
	v_fmac_f16_e32 v41, 0xbb9c, v42
	v_fmac_f16_e32 v43, -0.5, v48
	v_sub_f16_e32 v48, v76, v78
	v_sub_f16_e32 v70, v97, v91
	v_fmac_f16_e32 v45, 0x38b4, v47
	v_fmac_f16_e32 v41, 0xb8b4, v47
	v_fmamk_f16 v71, v47, 0xbb9c, v43
	v_fmac_f16_e32 v43, 0x3b9c, v47
	v_add_f16_e32 v47, v48, v70
	v_fmac_f16_e32 v45, 0x34f2, v44
	v_fmac_f16_e32 v41, 0x34f2, v44
	v_add_f16_e32 v44, v90, v96
	v_fmac_f16_e32 v71, 0x38b4, v42
	v_sub_f16_e32 v48, v89, v90
	v_sub_f16_e32 v70, v13, v96
	v_fmac_f16_e32 v43, 0xb8b4, v42
	v_add_f16_e32 v42, v89, v13
	v_fma_f16 v44, -0.5, v44, v81
	v_sub_f16_e32 v74, v83, v102
	v_add_f16_e32 v48, v48, v70
	v_add_f16_e32 v70, v81, v89
	v_fmac_f16_e32 v81, -0.5, v42
	v_add_f16_e32 v19, v19, v76
	v_sub_f16_e32 v72, v77, v12
	v_sub_f16_e32 v42, v90, v89
	v_sub_f16_e32 v75, v96, v13
	v_fmamk_f16 v76, v74, 0x3b9c, v81
	v_fmac_f16_e32 v81, 0xbb9c, v74
	v_add_f16_e32 v70, v70, v90
	v_fmac_f16_e32 v71, 0x34f2, v47
	v_add_f16_e32 v42, v42, v75
	v_fmac_f16_e32 v76, 0xb8b4, v72
	v_fmac_f16_e32 v81, 0x38b4, v72
	;; [unrolled: 1-line block ×3, first 2 shown]
	v_add_f16_e32 v47, v70, v96
	v_fmamk_f16 v73, v72, 0xbb9c, v44
	v_fmac_f16_e32 v44, 0x3b9c, v72
	v_fmac_f16_e32 v76, 0x34f2, v42
	;; [unrolled: 1-line block ×3, first 2 shown]
	v_add_f16_e32 v42, v47, v13
	v_add_f16_e32 v47, v83, v102
	v_fmac_f16_e32 v73, 0xb8b4, v74
	v_fmac_f16_e32 v44, 0x38b4, v74
	v_sub_f16_e32 v13, v89, v13
	v_add_f16_e32 v72, v77, v12
	v_fma_f16 v47, -0.5, v47, v79
	v_fmac_f16_e32 v73, 0x34f2, v48
	v_fmac_f16_e32 v44, 0x34f2, v48
	v_sub_f16_e32 v48, v77, v83
	v_sub_f16_e32 v70, v12, v102
	v_add_f16_e32 v74, v79, v77
	v_sub_f16_e32 v75, v90, v96
	v_fmac_f16_e32 v79, -0.5, v72
	v_fmamk_f16 v72, v13, 0x3b9c, v47
	v_add_f16_e32 v48, v48, v70
	v_add_f16_e32 v70, v74, v83
	v_sub_f16_e32 v74, v83, v77
	v_sub_f16_e32 v77, v102, v12
	v_fmamk_f16 v78, v75, 0xbb9c, v79
	v_fmac_f16_e32 v72, 0x38b4, v75
	v_fmac_f16_e32 v47, 0xbb9c, v13
	;; [unrolled: 1-line block ×3, first 2 shown]
	v_add_f16_e32 v70, v70, v102
	v_add_f16_e32 v74, v74, v77
	v_fmac_f16_e32 v78, 0x38b4, v13
	v_fmac_f16_e32 v72, 0x34f2, v48
	;; [unrolled: 1-line block ×4, first 2 shown]
	v_add_f16_e32 v12, v70, v12
	v_fmac_f16_e32 v78, 0x34f2, v74
	v_mul_f16_e32 v13, 0xb8b4, v72
	v_mul_f16_e32 v70, 0x3a79, v72
	v_fmac_f16_e32 v47, 0x34f2, v48
	v_fmac_f16_e32 v79, 0x34f2, v74
	v_add_f16_e32 v19, v19, v97
	v_mul_f16_e32 v48, 0xbb9c, v78
	v_fmac_f16_e32 v13, 0x3a79, v73
	v_fmac_f16_e32 v70, 0x38b4, v73
	v_mul_f16_e32 v73, 0xbb9c, v79
	v_mul_f16_e32 v75, 0xb8b4, v47
	v_add_f16_e32 v19, v19, v91
	v_mul_f16_e32 v72, 0x34f2, v78
	v_fmac_f16_e32 v48, 0x34f2, v76
	v_mul_f16_e32 v74, 0xb4f2, v79
	v_mul_f16_e32 v47, 0xba79, v47
	v_fmac_f16_e32 v73, 0xb4f2, v81
	v_fmac_f16_e32 v75, 0xba79, v44
	;; [unrolled: 1-line block ×5, first 2 shown]
	v_add_f16_e32 v44, v18, v42
	v_sub_f16_e32 v18, v18, v42
	v_add_f16_e32 v42, v23, v13
	v_sub_f16_e32 v13, v23, v13
	;; [unrolled: 2-line block ×6, first 2 shown]
	v_add_f16_e32 v12, v62, v63
	v_add_f16_e32 v77, v45, v70
	v_sub_f16_e32 v70, v45, v70
	v_add_f16_e32 v78, v71, v72
	v_sub_f16_e32 v71, v71, v72
	;; [unrolled: 2-line block ×3, first 2 shown]
	v_sub_f16_e32 v45, v65, v63
	v_sub_f16_e32 v74, v43, v74
	v_add_f16_e32 v43, v61, v65
	v_fma_f16 v12, -0.5, v12, v38
	v_sub_f16_e32 v79, v57, v64
	v_add_f16_e32 v19, v19, v45
	v_add_f16_e32 v45, v38, v61
	v_fmac_f16_e32 v38, -0.5, v43
	v_sub_f16_e32 v43, v60, v59
	v_fmamk_f16 v81, v79, 0xbb9c, v12
	v_fmac_f16_e32 v12, 0x3b9c, v79
	v_sub_f16_e32 v82, v62, v61
	v_sub_f16_e32 v83, v63, v65
	v_fmamk_f16 v84, v43, 0x3b9c, v38
	v_fmac_f16_e32 v38, 0xbb9c, v43
	v_fmac_f16_e32 v81, 0xb8b4, v43
	v_fmac_f16_e32 v12, 0x38b4, v43
	v_add_f16_e32 v43, v82, v83
	v_add_f16_e32 v82, v22, v16
	v_fmac_f16_e32 v84, 0xb8b4, v79
	v_fmac_f16_e32 v38, 0x38b4, v79
	v_add_f16_e32 v79, v41, v47
	v_sub_f16_e32 v83, v41, v47
	v_fma_f16 v82, -0.5, v82, v2
	v_sub_f16_e32 v41, v21, v66
	v_sub_f16_e32 v47, v20, v22
	;; [unrolled: 1-line block ×3, first 2 shown]
	v_fmac_f16_e32 v81, 0x34f2, v19
	v_add_f16_e32 v86, v20, v17
	v_fmamk_f16 v87, v41, 0xbb9c, v82
	v_sub_f16_e32 v88, v56, v58
	v_fmac_f16_e32 v12, 0x34f2, v19
	v_fmac_f16_e32 v82, 0x3b9c, v41
	v_add_f16_e32 v19, v47, v85
	v_add_f16_e32 v47, v2, v20
	v_fmac_f16_e32 v87, 0xb8b4, v88
	v_fmac_f16_e32 v2, -0.5, v86
	v_fmac_f16_e32 v82, 0x38b4, v88
	v_fmac_f16_e32 v84, 0x34f2, v43
	;; [unrolled: 1-line block ×3, first 2 shown]
	v_add_f16_e32 v43, v47, v22
	v_fmac_f16_e32 v87, 0x34f2, v19
	v_sub_f16_e32 v47, v22, v20
	v_sub_f16_e32 v85, v16, v17
	v_fmamk_f16 v86, v88, 0x3b9c, v2
	v_fmac_f16_e32 v2, 0xbb9c, v88
	v_fmac_f16_e32 v82, 0x34f2, v19
	v_add_f16_e32 v19, v43, v16
	v_add_f16_e32 v43, v47, v85
	v_fmac_f16_e32 v86, 0xb8b4, v41
	v_fmac_f16_e32 v2, 0x38b4, v41
	v_add_f16_e32 v41, v56, v58
	v_add_f16_e32 v19, v19, v17
	v_sub_f16_e32 v47, v21, v56
	v_sub_f16_e32 v85, v66, v58
	;; [unrolled: 1-line block ×3, first 2 shown]
	v_add_f16_e32 v20, v21, v66
	v_fma_f16 v88, -0.5, v41, v7
	v_sub_f16_e32 v16, v22, v16
	v_add_f16_e32 v22, v47, v85
	v_add_f16_e32 v85, v7, v21
	v_fmac_f16_e32 v7, -0.5, v20
	v_fmamk_f16 v89, v17, 0x3b9c, v88
	v_fmac_f16_e32 v88, 0xbb9c, v17
	v_sub_f16_e32 v20, v56, v21
	v_sub_f16_e32 v21, v58, v66
	v_fmamk_f16 v90, v16, 0xbb9c, v7
	v_fmac_f16_e32 v7, 0x3b9c, v16
	v_fmac_f16_e32 v89, 0x38b4, v16
	;; [unrolled: 1-line block ×3, first 2 shown]
	v_add_f16_e32 v16, v20, v21
	v_fmac_f16_e32 v90, 0x38b4, v17
	v_fmac_f16_e32 v7, 0xb8b4, v17
	v_add_f16_e32 v20, v45, v62
	v_fmac_f16_e32 v89, 0x34f2, v22
	v_fmac_f16_e32 v86, 0x34f2, v43
	;; [unrolled: 1-line block ×4, first 2 shown]
	v_add_f16_e32 v17, v20, v63
	v_fmac_f16_e32 v2, 0x34f2, v43
	v_mul_f16_e32 v16, 0xb8b4, v89
	v_mul_f16_e32 v20, 0xbb9c, v90
	;; [unrolled: 1-line block ×3, first 2 shown]
	v_add_f16_e32 v17, v17, v65
	v_fmac_f16_e32 v88, 0x34f2, v22
	v_fmac_f16_e32 v16, 0x3a79, v87
	;; [unrolled: 1-line block ×4, first 2 shown]
	v_add_f16_e32 v22, v17, v19
	v_sub_f16_e32 v17, v17, v19
	v_add_f16_e32 v19, v81, v16
	v_add_f16_e32 v41, v51, v53
	v_sub_f16_e32 v16, v81, v16
	v_add_f16_e32 v43, v84, v20
	v_sub_f16_e32 v20, v84, v20
	;; [unrolled: 2-line block ×3, first 2 shown]
	v_sub_f16_e32 v84, v55, v53
	v_sub_f16_e32 v21, v38, v21
	v_add_f16_e32 v38, v6, v55
	v_fma_f16 v41, -0.5, v41, v37
	v_sub_f16_e32 v47, v3, v54
	v_add_f16_e32 v81, v81, v84
	v_add_f16_e32 v84, v37, v6
	v_fmac_f16_e32 v37, -0.5, v38
	v_sub_f16_e32 v38, v51, v6
	v_sub_f16_e32 v94, v53, v55
	v_fmamk_f16 v91, v47, 0xbb9c, v41
	v_sub_f16_e32 v92, v49, v52
	v_fmac_f16_e32 v41, 0x3b9c, v47
	v_mul_f16_e32 v93, 0xb8b4, v88
	v_add_f16_e32 v38, v38, v94
	v_sub_f16_e32 v94, v8, v9
	v_sub_f16_e32 v96, v15, v11
	v_fmac_f16_e32 v91, 0xb8b4, v92
	v_fmac_f16_e32 v41, 0x38b4, v92
	v_fmamk_f16 v95, v92, 0x3b9c, v37
	v_fmac_f16_e32 v37, 0xbb9c, v92
	v_fmac_f16_e32 v93, 0xba79, v82
	v_add_f16_e32 v92, v9, v11
	v_add_f16_e32 v94, v94, v96
	v_add_f16_e32 v96, v8, v15
	v_fmac_f16_e32 v95, 0xb8b4, v47
	v_fmac_f16_e32 v37, 0x38b4, v47
	v_add_f16_e32 v47, v12, v93
	v_sub_f16_e32 v12, v12, v93
	v_fma_f16 v92, -0.5, v92, v0
	v_sub_f16_e32 v93, v10, v50
	v_sub_f16_e32 v97, v4, v5
	v_add_f16_e32 v98, v0, v8
	v_fmac_f16_e32 v0, -0.5, v96
	v_fmac_f16_e32 v91, 0x34f2, v81
	v_fmac_f16_e32 v41, 0x34f2, v81
	v_fmamk_f16 v81, v93, 0xbb9c, v92
	v_fmac_f16_e32 v92, 0x3b9c, v93
	v_fmamk_f16 v99, v97, 0x3b9c, v0
	v_fmac_f16_e32 v0, 0xbb9c, v97
	v_fmac_f16_e32 v95, 0x34f2, v38
	;; [unrolled: 1-line block ×5, first 2 shown]
	v_add_f16_e32 v38, v98, v9
	v_sub_f16_e32 v96, v9, v8
	v_sub_f16_e32 v98, v11, v15
	v_fmac_f16_e32 v99, 0xb8b4, v93
	v_fmac_f16_e32 v0, 0x38b4, v93
	v_add_f16_e32 v93, v4, v5
	v_fmac_f16_e32 v81, 0x34f2, v94
	v_add_f16_e32 v38, v38, v11
	;; [unrolled: 2-line block ×3, first 2 shown]
	v_sub_f16_e32 v96, v10, v4
	v_sub_f16_e32 v97, v50, v5
	;; [unrolled: 1-line block ×3, first 2 shown]
	v_fma_f16 v93, -0.5, v93, v1
	v_add_f16_e32 v38, v38, v15
	v_add_f16_e32 v15, v10, v50
	v_sub_f16_e32 v9, v9, v11
	v_add_f16_e32 v11, v96, v97
	v_fmamk_f16 v97, v8, 0x3b9c, v93
	v_add_f16_e32 v96, v1, v10
	v_fmac_f16_e32 v1, -0.5, v15
	v_sub_f16_e32 v10, v4, v10
	v_sub_f16_e32 v15, v5, v50
	v_fmac_f16_e32 v97, 0x38b4, v9
	v_fmac_f16_e32 v93, 0xbb9c, v8
	v_fmamk_f16 v98, v9, 0xbb9c, v1
	v_fmac_f16_e32 v1, 0x3b9c, v9
	v_add_f16_e32 v10, v10, v15
	v_add_f16_e32 v15, v84, v51
	v_fmac_f16_e32 v97, 0x34f2, v11
	v_fmac_f16_e32 v98, 0x38b4, v8
	;; [unrolled: 1-line block ×4, first 2 shown]
	v_add_f16_e32 v8, v15, v53
	v_mul_f16_e32 v9, 0xb8b4, v97
	v_fmac_f16_e32 v98, 0x34f2, v10
	v_fmac_f16_e32 v93, 0x34f2, v11
	;; [unrolled: 1-line block ×3, first 2 shown]
	v_add_f16_e32 v8, v8, v55
	v_fmac_f16_e32 v9, 0x3a79, v81
	v_fmac_f16_e32 v99, 0x34f2, v94
	;; [unrolled: 1-line block ×3, first 2 shown]
	v_mul_f16_e32 v15, 0xbb9c, v98
	v_add_f16_e32 v10, v8, v38
	v_sub_f16_e32 v8, v8, v38
	v_mul_f16_e32 v11, 0xbb9c, v1
	v_add_f16_e32 v38, v91, v9
	v_sub_f16_e32 v9, v91, v9
	v_mul_f16_e32 v91, 0xb8b4, v93
	v_fmac_f16_e32 v15, 0x34f2, v99
	v_fmac_f16_e32 v11, 0xb4f2, v0
	v_cndmask_b32_e64 v94, 0, 0x5dc, s0
	s_waitcnt lgkmcnt(0)
	v_fmac_f16_e32 v91, 0xba79, v92
	v_add_f16_e32 v84, v95, v15
	v_sub_f16_e32 v15, v95, v15
	v_add_f16_e32 v95, v37, v11
	v_sub_f16_e32 v11, v37, v11
	v_add3_u32 v94, 0, v94, v40
	v_add_f16_e32 v37, v41, v91
	v_sub_f16_e32 v40, v41, v91
	v_mov_b32_e32 v41, 0x5dc
	s_barrier
	buffer_gl0_inv
	ds_write_b16 v94, v44
	ds_write_b16 v94, v42 offset:150
	v_lshlrev_b32_sdwa v42, v35, v69 dst_sel:DWORD dst_unused:UNUSED_PAD src0_sel:DWORD src1_sel:BYTE_0
	v_mul_u32_u24_sdwa v27, v27, v41 dst_sel:DWORD dst_unused:UNUSED_PAD src0_sel:WORD_0 src1_sel:DWORD
	ds_write_b16 v94, v23 offset:300
	ds_write_b16 v94, v48 offset:450
	ds_write_b16 v94, v73 offset:600
	ds_write_b16 v94, v18 offset:750
	v_add_f16_e32 v69, v67, v57
	v_sub_f16_e32 v62, v62, v63
	v_sub_f16_e32 v61, v61, v65
	v_add3_u32 v27, 0, v27, v42
	ds_write_b16 v94, v13 offset:900
	ds_write_b16 v94, v46 offset:1050
	;; [unrolled: 1-line block ×4, first 2 shown]
	ds_write_b16 v27, v22
	ds_write_b16 v27, v19 offset:150
	v_mul_u32_u24_sdwa v13, v36, v41 dst_sel:DWORD dst_unused:UNUSED_PAD src0_sel:WORD_0 src1_sel:DWORD
	v_lshlrev_b32_sdwa v14, v35, v68 dst_sel:DWORD dst_unused:UNUSED_PAD src0_sel:DWORD src1_sel:WORD_0
	ds_write_b16 v27, v43 offset:300
	ds_write_b16 v27, v45 offset:450
	ds_write_b16 v27, v47 offset:600
	ds_write_b16 v27, v17 offset:750
	v_add_f16_e32 v69, v69, v60
	v_sub_f16_e32 v65, v57, v60
	v_add3_u32 v68, 0, v13, v14
	ds_write_b16 v27, v16 offset:900
	ds_write_b16 v27, v20 offset:1050
	;; [unrolled: 1-line block ×4, first 2 shown]
	ds_write_b16 v68, v10
	ds_write_b16 v68, v38 offset:150
	ds_write_b16 v68, v84 offset:300
	ds_write_b16 v68, v95 offset:450
	ds_write_b16 v68, v37 offset:600
	ds_write_b16 v68, v8 offset:750
	ds_write_b16 v68, v9 offset:900
	ds_write_b16 v68, v15 offset:1050
	ds_write_b16 v68, v11 offset:1200
	ds_write_b16 v68, v40 offset:1350
	s_waitcnt lgkmcnt(0)
	s_barrier
	buffer_gl0_inv
	ds_read_u16 v20, v29 offset:3500
	ds_read_u16 v36, v29 offset:3750
	ds_read_u16 v8, v29
	ds_read_u16 v12, v29 offset:250
	ds_read_u16 v18, v29 offset:500
	;; [unrolled: 1-line block ×27, first 2 shown]
	s_waitcnt lgkmcnt(0)
	s_barrier
	buffer_gl0_inv
	ds_write_b16 v94, v75
	ds_write_b16 v94, v77 offset:150
	ds_write_b16 v94, v78 offset:300
	;; [unrolled: 1-line block ×7, first 2 shown]
	v_add_f16_e32 v71, v60, v59
	v_add_f16_e32 v72, v57, v64
	;; [unrolled: 1-line block ×3, first 2 shown]
	v_sub_f16_e32 v70, v64, v59
	v_sub_f16_e32 v57, v60, v57
	v_fma_f16 v69, -0.5, v71, v67
	v_fmac_f16_e32 v67, -0.5, v72
	v_add_f16_e32 v60, v63, v64
	v_sub_f16_e32 v59, v59, v64
	v_add_f16_e32 v56, v85, v56
	v_fmamk_f16 v63, v61, 0x3b9c, v69
	v_fmamk_f16 v64, v62, 0xbb9c, v67
	v_fmac_f16_e32 v67, 0x3b9c, v62
	v_add_f16_e32 v57, v57, v59
	v_add_f16_e32 v65, v65, v70
	v_fmac_f16_e32 v63, 0x38b4, v62
	v_fmac_f16_e32 v64, 0x38b4, v61
	;; [unrolled: 1-line block ×3, first 2 shown]
	v_add_f16_e32 v56, v56, v58
	v_mul_f16_e32 v7, 0xb4f2, v7
	v_fmac_f16_e32 v63, 0x34f2, v65
	v_fmac_f16_e32 v64, 0x34f2, v57
	;; [unrolled: 1-line block ×3, first 2 shown]
	v_mul_f16_e32 v57, 0x3a79, v89
	v_add_f16_e32 v56, v56, v66
	v_fmac_f16_e32 v69, 0xbb9c, v61
	v_fmac_f16_e32 v7, 0x3b9c, v2
	v_add_f16_e32 v66, v49, v52
	v_fmac_f16_e32 v57, 0x38b4, v87
	v_add_f16_e32 v2, v60, v56
	v_sub_f16_e32 v56, v60, v56
	v_fmac_f16_e32 v69, 0xb8b4, v62
	v_add_f16_e32 v62, v67, v7
	v_add_f16_e32 v60, v63, v57
	v_sub_f16_e32 v57, v63, v57
	v_add_f16_e32 v63, v80, v3
	v_sub_f16_e32 v7, v67, v7
	;; [unrolled: 2-line block ×3, first 2 shown]
	v_fmac_f16_e32 v69, 0x34f2, v65
	v_add_f16_e32 v63, v63, v49
	v_sub_f16_e32 v6, v6, v55
	v_sub_f16_e32 v55, v3, v49
	;; [unrolled: 1-line block ×4, first 2 shown]
	v_add_f16_e32 v53, v63, v52
	v_fma_f16 v63, -0.5, v66, v80
	v_fmac_f16_e32 v80, -0.5, v67
	v_sub_f16_e32 v52, v52, v54
	v_add_f16_e32 v4, v96, v4
	v_add_f16_e32 v49, v53, v54
	v_fmamk_f16 v53, v6, 0x3b9c, v63
	v_fmamk_f16 v54, v51, 0xbb9c, v80
	v_fmac_f16_e32 v80, 0x3b9c, v51
	v_fmac_f16_e32 v63, 0xbb9c, v6
	v_add_f16_e32 v3, v3, v52
	v_mul_f16_e32 v58, 0x34f2, v90
	v_fmac_f16_e32 v54, 0x38b4, v6
	v_fmac_f16_e32 v80, 0xb8b4, v6
	v_mul_f16_e32 v59, 0xba79, v88
	v_add_f16_e32 v55, v55, v65
	v_fmac_f16_e32 v53, 0x38b4, v51
	v_fmac_f16_e32 v63, 0xb8b4, v51
	v_add_f16_e32 v4, v4, v5
	v_fmac_f16_e32 v54, 0x34f2, v3
	v_fmac_f16_e32 v80, 0x34f2, v3
	v_mul_f16_e32 v3, 0x3a79, v97
	v_mul_f16_e32 v5, 0x34f2, v98
	;; [unrolled: 1-line block ×4, first 2 shown]
	v_fmac_f16_e32 v58, 0x3b9c, v86
	v_fmac_f16_e32 v59, 0x38b4, v82
	;; [unrolled: 1-line block ×4, first 2 shown]
	v_add_f16_e32 v4, v4, v50
	v_fmac_f16_e32 v3, 0x38b4, v81
	v_fmac_f16_e32 v5, 0x3b9c, v99
	;; [unrolled: 1-line block ×4, first 2 shown]
	v_add_f16_e32 v61, v64, v58
	v_sub_f16_e32 v58, v64, v58
	v_add_f16_e32 v64, v69, v59
	ds_write_b16 v94, v74 offset:1200
	ds_write_b16 v94, v83 offset:1350
	v_sub_f16_e32 v59, v69, v59
	v_add_f16_e32 v0, v49, v4
	v_sub_f16_e32 v4, v49, v4
	v_add_f16_e32 v49, v53, v3
	;; [unrolled: 2-line block ×5, first 2 shown]
	v_sub_f16_e32 v6, v63, v6
	ds_write_b16 v27, v2
	ds_write_b16 v27, v60 offset:150
	ds_write_b16 v27, v61 offset:300
	;; [unrolled: 1-line block ×9, first 2 shown]
	ds_write_b16 v68, v0
	ds_write_b16 v68, v49 offset:150
	ds_write_b16 v68, v50 offset:300
	;; [unrolled: 1-line block ×9, first 2 shown]
	s_waitcnt lgkmcnt(0)
	s_barrier
	buffer_gl0_inv
	s_and_saveexec_b32 s0, vcc_lo
	s_cbranch_execz .LBB0_13
; %bb.12:
	v_lshlrev_b32_e32 v27, 2, v30
	v_lshlrev_b64 v[0:1], 2, v[27:28]
	v_lshlrev_b32_e32 v27, 2, v31
	v_mul_hi_u32 v31, 0x57619f1, v31
	v_lshlrev_b64 v[2:3], 2, v[27:28]
	v_add_co_u32 v0, vcc_lo, s8, v0
	v_add_co_ci_u32_e32 v1, vcc_lo, s9, v1, vcc_lo
	v_lshlrev_b32_e32 v27, 2, v34
	v_add_co_u32 v0, vcc_lo, 0x800, v0
	v_add_co_ci_u32_e32 v1, vcc_lo, 0, v1, vcc_lo
	v_lshlrev_b64 v[49:50], 2, v[27:28]
	global_load_dwordx4 v[4:7], v[0:1], off offset:940
	v_add_co_u32 v0, vcc_lo, s8, v2
	v_add_co_ci_u32_e32 v1, vcc_lo, s9, v3, vcc_lo
	v_add_co_u32 v0, vcc_lo, 0x800, v0
	v_add_co_ci_u32_e32 v1, vcc_lo, 0, v1, vcc_lo
	v_add_co_u32 v27, vcc_lo, s8, v49
	v_add_co_ci_u32_e32 v34, vcc_lo, s9, v50, vcc_lo
	global_load_dwordx4 v[0:3], v[0:1], off offset:940
	v_add_co_u32 v49, vcc_lo, 0x800, v27
	v_lshlrev_b32_e32 v27, 2, v33
	v_add_co_ci_u32_e32 v50, vcc_lo, 0, v34, vcc_lo
	v_lshlrev_b64 v[33:34], 2, v[27:28]
	global_load_dwordx4 v[49:52], v[49:50], off offset:940
	v_add_co_u32 v27, vcc_lo, s8, v33
	v_add_co_ci_u32_e32 v34, vcc_lo, s9, v34, vcc_lo
	v_add_co_u32 v33, vcc_lo, 0x800, v27
	v_add_co_ci_u32_e32 v34, vcc_lo, 0, v34, vcc_lo
	v_lshlrev_b32_e32 v27, 2, v32
	global_load_dwordx4 v[53:56], v[33:34], off offset:940
	ds_read_u16 v34, v29 offset:7250
	v_lshlrev_b64 v[32:33], 2, v[27:28]
	v_add_co_u32 v27, vcc_lo, s8, v32
	v_add_co_ci_u32_e32 v33, vcc_lo, s9, v33, vcc_lo
	v_add_co_u32 v32, vcc_lo, 0x800, v27
	v_add_co_ci_u32_e32 v33, vcc_lo, 0, v33, vcc_lo
	v_lshlrev_b32_e32 v27, 2, v26
	global_load_dwordx4 v[57:60], v[32:33], off offset:940
	v_lshlrev_b64 v[32:33], 2, v[27:28]
	ds_read_u16 v27, v29 offset:5750
	ds_read_u16 v65, v29 offset:5500
	;; [unrolled: 1-line block ×26, first 2 shown]
	v_add_co_u32 v32, vcc_lo, s8, v32
	v_add_co_ci_u32_e32 v33, vcc_lo, s9, v33, vcc_lo
	v_add_co_u32 v32, vcc_lo, 0x800, v32
	v_add_co_ci_u32_e32 v33, vcc_lo, 0, v33, vcc_lo
	;; [unrolled: 2-line block ×3, first 2 shown]
	global_load_dwordx4 v[61:64], v[32:33], off offset:940
	s_waitcnt vmcnt(5) lgkmcnt(19)
	v_mul_f16_sdwa v89, v70, v5 dst_sel:DWORD dst_unused:UNUSED_PAD src0_sel:DWORD src1_sel:WORD_1
	v_mul_f16_sdwa v32, v47, v5 dst_sel:DWORD dst_unused:UNUSED_PAD src0_sel:DWORD src1_sel:WORD_1
	;; [unrolled: 1-line block ×4, first 2 shown]
	s_waitcnt lgkmcnt(13)
	v_mul_f16_sdwa v92, v76, v4 dst_sel:DWORD dst_unused:UNUSED_PAD src0_sel:DWORD src1_sel:WORD_1
	v_fmac_f16_e32 v89, v47, v5
	ds_read_u16 v47, v29 offset:6750
	v_mul_f16_sdwa v93, v34, v7 dst_sel:DWORD dst_unused:UNUSED_PAD src0_sel:DWORD src1_sel:WORD_1
	v_mul_f16_sdwa v87, v46, v6 dst_sel:DWORD dst_unused:UNUSED_PAD src0_sel:DWORD src1_sel:WORD_1
	;; [unrolled: 1-line block ×3, first 2 shown]
	v_fma_f16 v32, v5, v70, -v32
	v_fma_f16 v33, v4, v76, -v33
	;; [unrolled: 1-line block ×3, first 2 shown]
	v_fmac_f16_e32 v92, v45, v4
	v_fmac_f16_e32 v93, v48, v7
	v_fma_f16 v27, v6, v27, -v87
	v_fmac_f16_e32 v91, v46, v6
	s_waitcnt vmcnt(4)
	v_mul_f16_sdwa v4, v42, v1 dst_sel:DWORD dst_unused:UNUSED_PAD src0_sel:DWORD src1_sel:WORD_1
	v_mul_f16_sdwa v5, v41, v0 dst_sel:DWORD dst_unused:UNUSED_PAD src0_sel:DWORD src1_sel:WORD_1
	;; [unrolled: 1-line block ×6, first 2 shown]
	s_waitcnt lgkmcnt(13)
	v_mul_f16_sdwa v34, v77, v0 dst_sel:DWORD dst_unused:UNUSED_PAD src0_sel:DWORD src1_sel:WORD_1
	s_waitcnt lgkmcnt(3)
	v_mul_f16_sdwa v48, v90, v3 dst_sel:DWORD dst_unused:UNUSED_PAD src0_sel:DWORD src1_sel:WORD_1
	v_sub_f16_e32 v76, v32, v33
	v_add_f16_e32 v94, v33, v70
	v_sub_f16_e32 v96, v33, v32
	v_add_f16_e32 v99, v33, v82
	;; [unrolled: 2-line block ×3, first 2 shown]
	v_sub_f16_e32 v87, v27, v70
	v_sub_f16_e32 v88, v89, v91
	;; [unrolled: 1-line block ×4, first 2 shown]
	v_add_f16_e32 v98, v32, v27
	v_sub_f16_e32 v100, v89, v92
	v_sub_f16_e32 v101, v91, v93
	;; [unrolled: 1-line block ×5, first 2 shown]
	v_fma_f16 v71, v1, v71, -v4
	v_add_f16_e32 v4, v89, v91
	v_add_f16_e32 v92, v40, v92
	v_fma_f16 v5, v0, v77, -v5
	v_fma_f16 v65, v2, v65, -v6
	;; [unrolled: 1-line block ×3, first 2 shown]
	v_fmac_f16_e32 v45, v42, v1
	v_fmac_f16_e32 v46, v43, v2
	;; [unrolled: 1-line block ×4, first 2 shown]
	s_waitcnt vmcnt(3)
	v_mul_f16_sdwa v6, v36, v50 dst_sel:DWORD dst_unused:UNUSED_PAD src0_sel:DWORD src1_sel:WORD_1
	v_mul_f16_sdwa v7, v37, v49 dst_sel:DWORD dst_unused:UNUSED_PAD src0_sel:DWORD src1_sel:WORD_1
	;; [unrolled: 1-line block ×7, first 2 shown]
	s_waitcnt lgkmcnt(0)
	v_mul_f16_sdwa v107, v47, v52 dst_sel:DWORD dst_unused:UNUSED_PAD src0_sel:DWORD src1_sel:WORD_1
	v_fma_f16 v0, -0.5, v94, v82
	v_fma_f16 v1, -0.5, v33, v40
	v_add_f16_e32 v76, v76, v87
	v_add_f16_e32 v87, v96, v97
	v_fma_f16 v2, -0.5, v98, v82
	v_add_f16_e32 v32, v32, v99
	v_add_f16_e32 v82, v100, v101
	;; [unrolled: 1-line block ×3, first 2 shown]
	v_fma_f16 v3, -0.5, v4, v40
	v_add_f16_e32 v4, v89, v92
	v_sub_f16_e32 v33, v71, v5
	v_sub_f16_e32 v40, v65, v77
	v_add_f16_e32 v92, v5, v77
	v_sub_f16_e32 v97, v5, v71
	v_sub_f16_e32 v98, v77, v65
	v_add_f16_e32 v99, v71, v65
	v_add_f16_e32 v100, v5, v83
	v_fma_f16 v72, v50, v72, -v6
	v_sub_f16_e32 v104, v5, v77
	v_fma_f16 v78, v49, v78, -v7
	v_add_f16_e32 v105, v34, v48
	v_fma_f16 v41, v51, v66, -v41
	v_fma_f16 v42, v52, v47, -v42
	v_fmac_f16_e32 v43, v36, v50
	v_fmac_f16_e32 v44, v38, v51
	v_add_f16_e32 v38, v45, v46
	v_add_f16_e32 v50, v23, v34
	v_fmac_f16_e32 v90, v37, v49
	v_fmac_f16_e32 v107, v39, v52
	s_waitcnt vmcnt(2)
	v_mul_f16_sdwa v37, v20, v54 dst_sel:DWORD dst_unused:UNUSED_PAD src0_sel:DWORD src1_sel:WORD_1
	v_mul_f16_sdwa v39, v21, v53 dst_sel:DWORD dst_unused:UNUSED_PAD src0_sel:DWORD src1_sel:WORD_1
	;; [unrolled: 1-line block ×7, first 2 shown]
	v_fmamk_f16 v5, v88, 0x3b9c, v0
	v_fmac_f16_e32 v0, 0xbb9c, v88
	v_fmamk_f16 v7, v103, 0xbb9c, v1
	v_fmac_f16_e32 v1, 0x3b9c, v103
	v_sub_f16_e32 v89, v45, v46
	v_sub_f16_e32 v96, v34, v48
	;; [unrolled: 1-line block ×5, first 2 shown]
	v_mul_f16_sdwa v52, v73, v54 dst_sel:DWORD dst_unused:UNUSED_PAD src0_sel:DWORD src1_sel:WORD_1
	v_add_f16_e32 v27, v27, v32
	v_add_f16_e32 v91, v4, v91
	v_add_f16_e32 v40, v33, v40
	v_add_f16_e32 v97, v97, v98
	v_fma_f16 v32, -0.5, v92, v83
	v_fma_f16 v34, -0.5, v99, v83
	v_fmamk_f16 v4, v95, 0xbb9c, v2
	v_fmac_f16_e32 v2, 0x3b9c, v95
	v_add_f16_e32 v71, v71, v100
	v_fma_f16 v33, -0.5, v105, v23
	v_fma_f16 v23, -0.5, v38, v23
	v_add_f16_e32 v38, v45, v50
	v_sub_f16_e32 v45, v72, v78
	v_fma_f16 v37, v54, v73, -v37
	v_add_f16_e32 v73, v78, v42
	v_fma_f16 v39, v53, v79, -v39
	v_sub_f16_e32 v79, v90, v107
	v_fma_f16 v49, v55, v67, -v49
	v_sub_f16_e32 v67, v78, v72
	;; [unrolled: 2-line block ×3, first 2 shown]
	v_fmac_f16_e32 v108, v22, v55
	v_add_f16_e32 v22, v78, v84
	v_fmac_f16_e32 v109, v21, v53
	v_sub_f16_e32 v21, v43, v90
	v_fmac_f16_e32 v111, v35, v56
	v_sub_f16_e32 v35, v44, v107
	v_sub_f16_e32 v53, v78, v42
	v_add_f16_e32 v55, v90, v107
	v_sub_f16_e32 v78, v90, v43
	v_sub_f16_e32 v98, v107, v44
	v_fmac_f16_e32 v5, 0xb8b4, v95
	v_fmac_f16_e32 v0, 0x38b4, v95
	v_add_f16_e32 v95, v43, v44
	v_add_f16_e32 v90, v19, v90
	v_fmac_f16_e32 v7, 0x38b4, v102
	v_fmac_f16_e32 v1, 0xb8b4, v102
	v_sub_f16_e32 v6, v46, v48
	v_sub_f16_e32 v36, v48, v46
	v_sub_f16_e32 v50, v43, v44
	v_fmac_f16_e32 v52, v20, v54
	v_add_f16_e32 v54, v72, v41
	v_sub_f16_e32 v56, v72, v41
	v_fmac_f16_e32 v4, 0xb8b4, v88
	v_fmac_f16_e32 v2, 0x38b4, v88
	v_add_f16_e32 v65, v65, v71
	v_fmamk_f16 v71, v89, 0x3b9c, v32
	v_fmac_f16_e32 v32, 0xbb9c, v89
	v_add_f16_e32 v38, v38, v46
	v_fmamk_f16 v46, v96, 0xbb9c, v34
	;; [unrolled: 3-line block ×3, first 2 shown]
	v_fmac_f16_e32 v23, 0xbb9c, v104
	v_fma_f16 v73, -0.5, v73, v84
	v_add_f16_e32 v22, v72, v22
	v_add_f16_e32 v21, v21, v35
	v_fma_f16 v35, -0.5, v55, v19
	v_add_f16_e32 v55, v78, v98
	v_fma_f16 v72, -0.5, v95, v19
	v_add_f16_e32 v19, v43, v90
	v_sub_f16_e32 v43, v37, v39
	v_sub_f16_e32 v78, v49, v51
	v_add_f16_e32 v90, v39, v51
	v_fmac_f16_e32 v7, 0x34f2, v82
	v_fmac_f16_e32 v1, 0x34f2, v82
	v_add_f16_e32 v82, v39, v85
	v_add_f16_e32 v36, v47, v36
	v_sub_f16_e32 v47, v41, v42
	v_fma_f16 v54, -0.5, v54, v84
	v_sub_f16_e32 v84, v52, v108
	v_sub_f16_e32 v98, v39, v37
	v_fmac_f16_e32 v4, 0x34f2, v87
	v_fmac_f16_e32 v2, 0x34f2, v87
	v_add_f16_e32 v87, v37, v49
	v_fmac_f16_e32 v71, 0xb8b4, v96
	v_fmac_f16_e32 v32, 0x38b4, v96
	;; [unrolled: 1-line block ×4, first 2 shown]
	v_add_f16_e32 v89, v109, v111
	v_add_f16_e32 v65, v77, v65
	v_sub_f16_e32 v77, v37, v49
	v_fmac_f16_e32 v92, 0x38b4, v66
	v_fmac_f16_e32 v23, 0xb8b4, v66
	v_add_f16_e32 v22, v41, v22
	v_fmamk_f16 v41, v50, 0x3b9c, v73
	v_fmac_f16_e32 v73, 0xbb9c, v50
	v_add_f16_e32 v19, v19, v44
	v_add_f16_e32 v43, v43, v78
	v_fmamk_f16 v78, v56, 0xbb9c, v35
	v_fmac_f16_e32 v35, 0x3b9c, v56
	v_fma_f16 v90, -0.5, v90, v85
	v_add_f16_e32 v37, v37, v82
	v_add_f16_e32 v20, v70, v27
	s_waitcnt vmcnt(1)
	v_mul_f16_sdwa v27, v14, v57 dst_sel:DWORD dst_unused:UNUSED_PAD src0_sel:DWORD src1_sel:WORD_1
	v_mul_f16_sdwa v99, v15, v60 dst_sel:DWORD dst_unused:UNUSED_PAD src0_sel:DWORD src1_sel:WORD_1
	v_add_f16_e32 v45, v45, v47
	v_sub_f16_e32 v95, v109, v111
	v_add_f16_e32 v38, v38, v48
	v_add_f16_e32 v48, v52, v108
	v_fma_f16 v85, -0.5, v87, v85
	v_fma_f16 v87, -0.5, v89, v18
	v_fmac_f16_e32 v71, 0x34f2, v40
	v_fmac_f16_e32 v32, 0x34f2, v40
	;; [unrolled: 1-line block ×6, first 2 shown]
	v_add_f16_e32 v36, v42, v22
	v_fmac_f16_e32 v78, 0x38b4, v53
	v_fmac_f16_e32 v35, 0xb8b4, v53
	v_add_f16_e32 v40, v19, v107
	v_fmamk_f16 v42, v84, 0x3b9c, v90
	v_fmac_f16_e32 v90, 0xbb9c, v84
	v_add_f16_e32 v19, v49, v37
	v_add_f16_e32 v83, v101, v6
	v_fmamk_f16 v6, v102, 0x3b9c, v3
	v_fmac_f16_e32 v3, 0xbb9c, v102
	v_mul_f16_sdwa v88, v16, v58 dst_sel:DWORD dst_unused:UNUSED_PAD src0_sel:DWORD src1_sel:WORD_1
	v_mul_f16_sdwa v70, v17, v59 dst_sel:DWORD dst_unused:UNUSED_PAD src0_sel:DWORD src1_sel:WORD_1
	v_add_f16_e32 v91, v91, v93
	v_mul_f16_sdwa v93, v74, v58 dst_sel:DWORD dst_unused:UNUSED_PAD src0_sel:DWORD src1_sel:WORD_1
	v_fmac_f16_e32 v5, 0x34f2, v76
	v_fmac_f16_e32 v0, 0x34f2, v76
	v_sub_f16_e32 v76, v51, v49
	v_sub_f16_e32 v39, v39, v51
	v_add_f16_e32 v101, v18, v109
	v_fma_f16 v27, v57, v80, -v27
	v_fma_f16 v48, -0.5, v48, v18
	v_fmamk_f16 v37, v77, 0xbb9c, v87
	v_fmac_f16_e32 v87, 0x3b9c, v77
	v_fmac_f16_e32 v41, 0x34f2, v45
	v_fmac_f16_e32 v73, 0x34f2, v45
	v_fmac_f16_e32 v78, 0x34f2, v21
	v_fmac_f16_e32 v35, 0x34f2, v21
	v_fmac_f16_e32 v42, 0xb8b4, v95
	v_fmac_f16_e32 v90, 0x38b4, v95
	v_add_f16_e32 v45, v51, v19
	v_mul_f16_sdwa v19, v68, v59 dst_sel:DWORD dst_unused:UNUSED_PAD src0_sel:DWORD src1_sel:WORD_1
	ds_read_u16 v21, v29 offset:6000
	v_fma_f16 v22, v60, v110, -v99
	v_fmac_f16_e32 v6, 0x38b4, v103
	v_fmac_f16_e32 v3, 0xb8b4, v103
	v_add_f16_e32 v76, v98, v76
	v_fmamk_f16 v98, v53, 0x3b9c, v72
	v_fmac_f16_e32 v72, 0xbb9c, v53
	v_add_f16_e32 v18, v52, v101
	v_fmamk_f16 v49, v39, 0x3b9c, v48
	v_fmac_f16_e32 v48, 0xbb9c, v39
	v_fmac_f16_e32 v37, 0x38b4, v39
	;; [unrolled: 1-line block ×5, first 2 shown]
	v_fma_f16 v39, v58, v74, -v88
	v_fmac_f16_e32 v93, v16, v58
	v_fmac_f16_e32 v19, v17, v59
	v_fma_f16 v16, v59, v68, -v70
	v_add_f16_e32 v17, v27, v22
	v_mul_f16_sdwa v43, v80, v57 dst_sel:DWORD dst_unused:UNUSED_PAD src0_sel:DWORD src1_sel:WORD_1
	v_mul_f16_sdwa v51, v110, v60 dst_sel:DWORD dst_unused:UNUSED_PAD src0_sel:DWORD src1_sel:WORD_1
	v_fmac_f16_e32 v6, 0x34f2, v94
	v_fmac_f16_e32 v3, 0x34f2, v94
	v_sub_f16_e32 v94, v52, v109
	v_sub_f16_e32 v100, v109, v52
	v_fmac_f16_e32 v98, 0x38b4, v56
	v_fmac_f16_e32 v72, 0xb8b4, v56
	v_add_f16_e32 v18, v18, v108
	v_sub_f16_e32 v52, v93, v19
	v_fma_f16 v53, -0.5, v17, v86
	v_fmac_f16_e32 v43, v14, v57
	v_fmac_f16_e32 v51, v15, v60
	v_add_f16_e32 v17, v39, v16
	v_fmac_f16_e32 v98, 0x34f2, v55
	v_fmac_f16_e32 v72, 0x34f2, v55
	v_sub_f16_e32 v14, v39, v27
	v_sub_f16_e32 v15, v16, v22
	v_fmamk_f16 v55, v52, 0x3b9c, v53
	v_sub_f16_e32 v56, v43, v51
	v_add_f16_e32 v57, v18, v111
	v_fma_f16 v18, -0.5, v17, v86
	v_fmac_f16_e32 v53, 0xbb9c, v52
	v_add_f16_e32 v14, v14, v15
	v_fmac_f16_e32 v55, 0xb8b4, v56
	v_sub_f16_e32 v15, v27, v39
	v_sub_f16_e32 v17, v22, v16
	v_fmamk_f16 v58, v56, 0xbb9c, v18
	v_fmac_f16_e32 v53, 0x38b4, v56
	v_fmac_f16_e32 v18, 0x3b9c, v56
	v_add_f16_e32 v56, v27, v86
	v_add_f16_e32 v15, v15, v17
	v_fmac_f16_e32 v58, 0xb8b4, v52
	v_fmac_f16_e32 v55, 0x34f2, v14
	;; [unrolled: 1-line block ×3, first 2 shown]
	v_add_f16_e32 v17, v39, v56
	v_fmac_f16_e32 v53, 0x34f2, v14
	v_add_f16_e32 v14, v43, v51
	v_fmac_f16_e32 v58, 0x34f2, v15
	v_fmac_f16_e32 v18, 0x34f2, v15
	v_add_f16_e32 v15, v16, v17
	v_sub_f16_e32 v17, v93, v43
	v_sub_f16_e32 v52, v19, v51
	v_fma_f16 v56, -0.5, v14, v12
	v_add_f16_e32 v14, v93, v19
	v_sub_f16_e32 v16, v39, v16
	v_add_f16_e32 v39, v22, v15
	v_add_f16_e32 v15, v17, v52
	v_sub_f16_e32 v17, v27, v22
	v_fma_f16 v22, -0.5, v14, v12
	v_fmamk_f16 v52, v16, 0xbb9c, v56
	v_fmac_f16_e32 v56, 0x3b9c, v16
	ds_read_u16 v29, v29
	v_add_f16_e32 v12, v12, v43
	v_fmamk_f16 v59, v17, 0x3b9c, v22
	v_fmac_f16_e32 v52, 0x38b4, v17
	v_fmac_f16_e32 v56, 0xb8b4, v17
	;; [unrolled: 1-line block ×3, first 2 shown]
	v_sub_f16_e32 v14, v43, v93
	v_sub_f16_e32 v27, v51, v19
	v_fmac_f16_e32 v59, 0x38b4, v16
	v_fmac_f16_e32 v52, 0x34f2, v15
	v_add_f16_e32 v12, v93, v12
	v_fmac_f16_e32 v56, 0x34f2, v15
	s_waitcnt vmcnt(0)
	v_mul_f16_sdwa v15, v9, v61 dst_sel:DWORD dst_unused:UNUSED_PAD src0_sel:DWORD src1_sel:WORD_1
	v_fmac_f16_e32 v22, 0xb8b4, v16
	v_mul_f16_sdwa v16, v10, v64 dst_sel:DWORD dst_unused:UNUSED_PAD src0_sel:DWORD src1_sel:WORD_1
	v_add_f16_e32 v14, v14, v27
	v_add_f16_e32 v12, v12, v19
	v_mul_f16_sdwa v17, v11, v62 dst_sel:DWORD dst_unused:UNUSED_PAD src0_sel:DWORD src1_sel:WORD_1
	v_fma_f16 v15, v61, v81, -v15
	v_mul_f16_sdwa v19, v75, v62 dst_sel:DWORD dst_unused:UNUSED_PAD src0_sel:DWORD src1_sel:WORD_1
	v_mul_f16_sdwa v43, v69, v63 dst_sel:DWORD dst_unused:UNUSED_PAD src0_sel:DWORD src1_sel:WORD_1
	s_waitcnt lgkmcnt(1)
	v_fma_f16 v16, v64, v21, -v16
	v_mul_f16_sdwa v27, v13, v63 dst_sel:DWORD dst_unused:UNUSED_PAD src0_sel:DWORD src1_sel:WORD_1
	v_fma_f16 v17, v62, v75, -v17
	v_fmac_f16_e32 v19, v11, v62
	v_fmac_f16_e32 v43, v13, v63
	v_add_f16_e32 v11, v15, v16
	v_mul_f16_sdwa v13, v81, v61 dst_sel:DWORD dst_unused:UNUSED_PAD src0_sel:DWORD src1_sel:WORD_1
	v_mul_f16_sdwa v21, v21, v64 dst_sel:DWORD dst_unused:UNUSED_PAD src0_sel:DWORD src1_sel:WORD_1
	v_fma_f16 v27, v63, v69, -v27
	v_sub_f16_e32 v60, v19, v43
	s_waitcnt lgkmcnt(0)
	v_fma_f16 v62, -0.5, v11, v29
	v_fmac_f16_e32 v13, v9, v61
	v_fmac_f16_e32 v21, v10, v64
	v_sub_f16_e32 v9, v17, v15
	v_sub_f16_e32 v10, v27, v16
	v_add_f16_e32 v11, v17, v27
	v_fmac_f16_e32 v59, 0x34f2, v14
	v_sub_f16_e32 v63, v13, v21
	v_fmamk_f16 v61, v60, 0x3b9c, v62
	v_add_f16_e32 v9, v9, v10
	v_fma_f16 v10, -0.5, v11, v29
	v_fmac_f16_e32 v22, 0x34f2, v14
	v_add_f16_e32 v51, v12, v51
	v_fmac_f16_e32 v62, 0xbb9c, v60
	v_sub_f16_e32 v11, v15, v17
	v_sub_f16_e32 v12, v16, v27
	v_fmamk_f16 v64, v63, 0xbb9c, v10
	v_fmac_f16_e32 v10, 0x3b9c, v63
	v_add_f16_e32 v14, v15, v29
	v_fmac_f16_e32 v61, 0xb8b4, v63
	v_fmac_f16_e32 v62, 0x38b4, v63
	v_add_f16_e32 v11, v11, v12
	v_fmac_f16_e32 v64, 0xb8b4, v60
	;; [unrolled: 3-line block ×3, first 2 shown]
	v_fmac_f16_e32 v62, 0x34f2, v9
	v_fmac_f16_e32 v64, 0x34f2, v11
	v_fmac_f16_e32 v10, 0x34f2, v11
	v_add_f16_e32 v9, v13, v21
	v_add_f16_e32 v11, v27, v12
	;; [unrolled: 1-line block ×3, first 2 shown]
	v_sub_f16_e32 v12, v19, v13
	v_sub_f16_e32 v14, v43, v21
	v_fma_f16 v60, -0.5, v9, v8
	v_sub_f16_e32 v9, v17, v27
	v_add_f16_e32 v11, v16, v11
	v_sub_f16_e32 v15, v15, v16
	v_fma_f16 v16, -0.5, v29, v8
	v_sub_f16_e32 v17, v13, v19
	v_sub_f16_e32 v27, v21, v43
	v_add_f16_e32 v8, v8, v13
	v_add_f16_e32 v12, v12, v14
	v_fmamk_f16 v14, v9, 0xbb9c, v60
	v_fmamk_f16 v29, v15, 0x3b9c, v16
	v_fmac_f16_e32 v16, 0xbb9c, v15
	v_fmac_f16_e32 v60, 0x3b9c, v9
	v_add_f16_e32 v13, v17, v27
	v_add_f16_e32 v8, v19, v8
	v_mov_b32_e32 v27, v28
	v_fmac_f16_e32 v14, 0x38b4, v15
	v_fmac_f16_e32 v16, 0xb8b4, v9
	;; [unrolled: 1-line block ×4, first 2 shown]
	v_add_f16_e32 v15, v8, v43
	v_lshlrev_b64 v[8:9], 2, v[26:27]
	v_fmac_f16_e32 v16, 0x34f2, v13
	v_fmamk_f16 v44, v79, 0xbb9c, v54
	v_fmac_f16_e32 v54, 0x3b9c, v79
	v_add_f16_e32 v15, v15, v21
	v_fmac_f16_e32 v14, 0x34f2, v12
	v_add_co_u32 v8, vcc_lo, v24, v8
	v_add_co_ci_u32_e32 v9, vcc_lo, v25, v9, vcc_lo
	v_pack_b32_f16 v16, v16, v10
	v_add_co_u32 v10, vcc_lo, 0x800, v8
	v_pack_b32_f16 v15, v15, v11
	v_add_co_ci_u32_e32 v11, vcc_lo, 0, v9, vcc_lo
	v_fmac_f16_e32 v60, 0x34f2, v12
	v_add_co_u32 v12, vcc_lo, 0x1000, v8
	v_fmac_f16_e32 v29, 0x34f2, v13
	v_add_co_ci_u32_e32 v13, vcc_lo, 0, v9, vcc_lo
	v_fmamk_f16 v47, v66, 0xbb9c, v33
	v_fmac_f16_e32 v33, 0x3b9c, v66
	v_sub_f16_e32 v66, v111, v108
	v_fmac_f16_e32 v44, 0xb8b4, v50
	v_fmac_f16_e32 v54, 0x38b4, v50
	v_fmamk_f16 v50, v95, 0xbb9c, v85
	v_fmac_f16_e32 v85, 0x3b9c, v95
	v_pack_b32_f16 v21, v14, v61
	v_add_co_u32 v14, vcc_lo, 0x2000, v8
	global_store_dword v[8:9], v15, off
	global_store_dword v[10:11], v16, off offset:952
	v_add_co_ci_u32_e32 v15, vcc_lo, 0, v9, vcc_lo
	v_pack_b32_f16 v19, v60, v62
	v_add_co_u32 v16, vcc_lo, 0x2800, v8
	v_add_f16_e32 v66, v100, v66
	v_fmac_f16_e32 v85, 0x38b4, v84
	v_fmac_f16_e32 v48, 0xb8b4, v77
	v_pack_b32_f16 v26, v29, v64
	v_add_co_ci_u32_e32 v17, vcc_lo, 0, v9, vcc_lo
	v_sub_f16_e32 v96, v108, v111
	v_pack_b32_f16 v27, v51, v39
	v_pack_b32_f16 v18, v22, v18
	global_store_dword v[12:13], v19, off offset:1904
	global_store_dword v[14:15], v21, off offset:808
	;; [unrolled: 1-line block ×5, first 2 shown]
	v_add_co_u32 v18, vcc_lo, 0x1800, v8
	v_fmac_f16_e32 v85, 0x34f2, v76
	v_fmac_f16_e32 v48, 0x34f2, v66
	v_add_co_ci_u32_e32 v19, vcc_lo, 0, v9, vcc_lo
	v_add_f16_e32 v82, v94, v96
	v_pack_b32_f16 v26, v56, v53
	v_add_co_u32 v21, vcc_lo, 0x3000, v8
	v_pack_b32_f16 v27, v52, v55
	v_fmac_f16_e32 v50, 0xb8b4, v84
	v_fmac_f16_e32 v49, 0x38b4, v77
	v_pack_b32_f16 v29, v59, v58
	v_add_co_ci_u32_e32 v22, vcc_lo, 0, v9, vcc_lo
	v_pack_b32_f16 v39, v57, v45
	v_pack_b32_f16 v43, v48, v85
	v_fmac_f16_e32 v87, 0x34f2, v82
	global_store_dword v[18:19], v26, off offset:356
	global_store_dword v[14:15], v27, off offset:1308
	global_store_dword v[21:22], v29, off offset:212
	global_store_dword v[8:9], v39, off offset:1000
	global_store_dword v[10:11], v43, off offset:1952
	v_lshrrev_b32_e32 v10, 4, v31
	v_fmac_f16_e32 v37, 0x34f2, v82
	v_fmac_f16_e32 v50, 0x34f2, v76
	;; [unrolled: 1-line block ×3, first 2 shown]
	v_pack_b32_f16 v11, v87, v90
	v_mul_u32_u24_e32 v27, 0xbb8, v10
	v_pack_b32_f16 v26, v37, v42
	v_pack_b32_f16 v31, v40, v36
	;; [unrolled: 1-line block ×3, first 2 shown]
	v_fmac_f16_e32 v54, 0x34f2, v67
	global_store_dword v[18:19], v11, off offset:856
	global_store_dword v[14:15], v26, off offset:1808
	;; [unrolled: 1-line block ×4, first 2 shown]
	v_lshlrev_b64 v[10:11], 2, v[27:28]
	v_fmac_f16_e32 v44, 0x34f2, v67
	v_pack_b32_f16 v14, v72, v54
	v_pack_b32_f16 v15, v35, v73
	;; [unrolled: 1-line block ×3, first 2 shown]
	v_fmac_f16_e32 v33, 0xb8b4, v104
	v_add_co_u32 v8, vcc_lo, v8, v10
	v_pack_b32_f16 v27, v98, v44
	v_add_co_ci_u32_e32 v9, vcc_lo, v9, v11, vcc_lo
	v_pack_b32_f16 v10, v38, v65
	global_store_dword v[12:13], v14, off offset:404
	global_store_dword v[18:19], v15, off offset:1356
	;; [unrolled: 1-line block ×5, first 2 shown]
	v_mul_hi_u32 v14, 0x57619f1, v30
	v_fmac_f16_e32 v47, 0x38b4, v104
	v_add_co_u32 v10, vcc_lo, 0x1000, v8
	v_add_co_ci_u32_e32 v11, vcc_lo, 0, v9, vcc_lo
	v_fmac_f16_e32 v34, 0x34f2, v97
	v_add_co_u32 v12, vcc_lo, 0x1800, v8
	v_lshrrev_b32_e32 v16, 4, v14
	v_fmac_f16_e32 v33, 0x34f2, v83
	v_fmac_f16_e32 v47, 0x34f2, v83
	v_add_co_ci_u32_e32 v13, vcc_lo, 0, v9, vcc_lo
	v_mad_u32_u24 v27, 0xbb8, v16, v30
	v_fmac_f16_e32 v46, 0x34f2, v97
	v_add_co_u32 v14, vcc_lo, 0x2800, v8
	v_pack_b32_f16 v18, v23, v34
	v_lshlrev_b64 v[16:17], 2, v[27:28]
	v_add_co_ci_u32_e32 v15, vcc_lo, 0, v9, vcc_lo
	v_pack_b32_f16 v19, v33, v32
	v_add_co_u32 v8, vcc_lo, 0x3000, v8
	v_pack_b32_f16 v21, v47, v71
	v_pack_b32_f16 v22, v92, v46
	v_add_co_ci_u32_e32 v9, vcc_lo, 0, v9, vcc_lo
	global_store_dword v[10:11], v18, off offset:904
	global_store_dword v[12:13], v19, off offset:1856
	;; [unrolled: 1-line block ×4, first 2 shown]
	v_add_co_u32 v8, vcc_lo, v24, v16
	v_add_co_ci_u32_e32 v9, vcc_lo, v25, v17, vcc_lo
	v_pack_b32_f16 v13, v3, v2
	v_add_co_u32 v2, vcc_lo, 0x800, v8
	v_add_co_ci_u32_e32 v3, vcc_lo, 0, v9, vcc_lo
	v_pack_b32_f16 v14, v1, v0
	v_add_co_u32 v0, vcc_lo, 0x1000, v8
	v_add_co_ci_u32_e32 v1, vcc_lo, 0, v9, vcc_lo
	v_add_co_u32 v10, vcc_lo, 0x2000, v8
	v_pack_b32_f16 v12, v91, v20
	v_add_co_ci_u32_e32 v11, vcc_lo, 0, v9, vcc_lo
	v_pack_b32_f16 v6, v6, v4
	v_add_co_u32 v4, vcc_lo, 0x2800, v8
	v_pack_b32_f16 v7, v7, v5
	v_add_co_ci_u32_e32 v5, vcc_lo, 0, v9, vcc_lo
	global_store_dword v[8:9], v12, off
	global_store_dword v[2:3], v13, off offset:952
	global_store_dword v[0:1], v14, off offset:1904
	global_store_dword v[10:11], v7, off offset:808
	global_store_dword v[4:5], v6, off offset:1760
.LBB0_13:
	s_endpgm
	.section	.rodata,"a",@progbits
	.p2align	6, 0x0
	.amdhsa_kernel fft_rtc_back_len3750_factors_3_5_5_10_5_wgs_125_tpt_125_halfLds_half_ip_CI_unitstride_sbrr_dirReg
		.amdhsa_group_segment_fixed_size 0
		.amdhsa_private_segment_fixed_size 0
		.amdhsa_kernarg_size 88
		.amdhsa_user_sgpr_count 6
		.amdhsa_user_sgpr_private_segment_buffer 1
		.amdhsa_user_sgpr_dispatch_ptr 0
		.amdhsa_user_sgpr_queue_ptr 0
		.amdhsa_user_sgpr_kernarg_segment_ptr 1
		.amdhsa_user_sgpr_dispatch_id 0
		.amdhsa_user_sgpr_flat_scratch_init 0
		.amdhsa_user_sgpr_private_segment_size 0
		.amdhsa_wavefront_size32 1
		.amdhsa_uses_dynamic_stack 0
		.amdhsa_system_sgpr_private_segment_wavefront_offset 0
		.amdhsa_system_sgpr_workgroup_id_x 1
		.amdhsa_system_sgpr_workgroup_id_y 0
		.amdhsa_system_sgpr_workgroup_id_z 0
		.amdhsa_system_sgpr_workgroup_info 0
		.amdhsa_system_vgpr_workitem_id 0
		.amdhsa_next_free_vgpr 118
		.amdhsa_next_free_sgpr 21
		.amdhsa_reserve_vcc 1
		.amdhsa_reserve_flat_scratch 0
		.amdhsa_float_round_mode_32 0
		.amdhsa_float_round_mode_16_64 0
		.amdhsa_float_denorm_mode_32 3
		.amdhsa_float_denorm_mode_16_64 3
		.amdhsa_dx10_clamp 1
		.amdhsa_ieee_mode 1
		.amdhsa_fp16_overflow 0
		.amdhsa_workgroup_processor_mode 1
		.amdhsa_memory_ordered 1
		.amdhsa_forward_progress 0
		.amdhsa_shared_vgpr_count 0
		.amdhsa_exception_fp_ieee_invalid_op 0
		.amdhsa_exception_fp_denorm_src 0
		.amdhsa_exception_fp_ieee_div_zero 0
		.amdhsa_exception_fp_ieee_overflow 0
		.amdhsa_exception_fp_ieee_underflow 0
		.amdhsa_exception_fp_ieee_inexact 0
		.amdhsa_exception_int_div_zero 0
	.end_amdhsa_kernel
	.text
.Lfunc_end0:
	.size	fft_rtc_back_len3750_factors_3_5_5_10_5_wgs_125_tpt_125_halfLds_half_ip_CI_unitstride_sbrr_dirReg, .Lfunc_end0-fft_rtc_back_len3750_factors_3_5_5_10_5_wgs_125_tpt_125_halfLds_half_ip_CI_unitstride_sbrr_dirReg
                                        ; -- End function
	.section	.AMDGPU.csdata,"",@progbits
; Kernel info:
; codeLenInByte = 20616
; NumSgprs: 23
; NumVgprs: 118
; ScratchSize: 0
; MemoryBound: 0
; FloatMode: 240
; IeeeMode: 1
; LDSByteSize: 0 bytes/workgroup (compile time only)
; SGPRBlocks: 2
; VGPRBlocks: 14
; NumSGPRsForWavesPerEU: 23
; NumVGPRsForWavesPerEU: 118
; Occupancy: 8
; WaveLimiterHint : 1
; COMPUTE_PGM_RSRC2:SCRATCH_EN: 0
; COMPUTE_PGM_RSRC2:USER_SGPR: 6
; COMPUTE_PGM_RSRC2:TRAP_HANDLER: 0
; COMPUTE_PGM_RSRC2:TGID_X_EN: 1
; COMPUTE_PGM_RSRC2:TGID_Y_EN: 0
; COMPUTE_PGM_RSRC2:TGID_Z_EN: 0
; COMPUTE_PGM_RSRC2:TIDIG_COMP_CNT: 0
	.text
	.p2alignl 6, 3214868480
	.fill 48, 4, 3214868480
	.type	__hip_cuid_d7e1ca5571fc30b9,@object ; @__hip_cuid_d7e1ca5571fc30b9
	.section	.bss,"aw",@nobits
	.globl	__hip_cuid_d7e1ca5571fc30b9
__hip_cuid_d7e1ca5571fc30b9:
	.byte	0                               ; 0x0
	.size	__hip_cuid_d7e1ca5571fc30b9, 1

	.ident	"AMD clang version 19.0.0git (https://github.com/RadeonOpenCompute/llvm-project roc-6.4.0 25133 c7fe45cf4b819c5991fe208aaa96edf142730f1d)"
	.section	".note.GNU-stack","",@progbits
	.addrsig
	.addrsig_sym __hip_cuid_d7e1ca5571fc30b9
	.amdgpu_metadata
---
amdhsa.kernels:
  - .args:
      - .actual_access:  read_only
        .address_space:  global
        .offset:         0
        .size:           8
        .value_kind:     global_buffer
      - .offset:         8
        .size:           8
        .value_kind:     by_value
      - .actual_access:  read_only
        .address_space:  global
        .offset:         16
        .size:           8
        .value_kind:     global_buffer
      - .actual_access:  read_only
        .address_space:  global
        .offset:         24
        .size:           8
        .value_kind:     global_buffer
      - .offset:         32
        .size:           8
        .value_kind:     by_value
      - .actual_access:  read_only
        .address_space:  global
        .offset:         40
        .size:           8
        .value_kind:     global_buffer
      - .actual_access:  read_only
        .address_space:  global
        .offset:         48
        .size:           8
        .value_kind:     global_buffer
      - .offset:         56
        .size:           4
        .value_kind:     by_value
      - .actual_access:  read_only
        .address_space:  global
        .offset:         64
        .size:           8
        .value_kind:     global_buffer
      - .actual_access:  read_only
        .address_space:  global
        .offset:         72
        .size:           8
        .value_kind:     global_buffer
      - .address_space:  global
        .offset:         80
        .size:           8
        .value_kind:     global_buffer
    .group_segment_fixed_size: 0
    .kernarg_segment_align: 8
    .kernarg_segment_size: 88
    .language:       OpenCL C
    .language_version:
      - 2
      - 0
    .max_flat_workgroup_size: 125
    .name:           fft_rtc_back_len3750_factors_3_5_5_10_5_wgs_125_tpt_125_halfLds_half_ip_CI_unitstride_sbrr_dirReg
    .private_segment_fixed_size: 0
    .sgpr_count:     23
    .sgpr_spill_count: 0
    .symbol:         fft_rtc_back_len3750_factors_3_5_5_10_5_wgs_125_tpt_125_halfLds_half_ip_CI_unitstride_sbrr_dirReg.kd
    .uniform_work_group_size: 1
    .uses_dynamic_stack: false
    .vgpr_count:     118
    .vgpr_spill_count: 0
    .wavefront_size: 32
    .workgroup_processor_mode: 1
amdhsa.target:   amdgcn-amd-amdhsa--gfx1030
amdhsa.version:
  - 1
  - 2
...

	.end_amdgpu_metadata
